;; amdgpu-corpus repo=ROCm/Tensile kind=harvested arch=n/a opt=n/a

/******************************************/
/* Function Prefix                        */
/******************************************/



/******************************************/
/* Begin Kernel                           */
/******************************************/

// Component.Signature.SignatureDefault
.amdgcn_target "amdgcn-amd-amdhsa--gfx90a"
.text
.protected Cijk_Ailk_Bjlk_HHS_BHRZ_MT128x192x32_MI32x32x8x1_SN_1LDSB0_APM1_ABV0_ACED0_AF0EM1_AF1EM1_AMAS0_ASE_ASGT_ASLT_ASEM1_AAC0_BL1_BS1_CLR0_DTVA0_DVO0_ETSP_EPS0_EMLL0_FL0_GLVWA4_GLVWB4_GRPM1_GRVW4_GSU11_GSUAMB_GLS0_ISA90a_IU1_K1_KLA_LBSPPA0_LBSPPB0_LPA0_LPB0_LDL1_LRVW4_LWPMn1_LDW0_FMA_MIAV0_MO1_MMFGLC_NTA0_NTB0_NTC0_NTD0_NEPBS0_NLCA1_NLCB3_ONLL1_OPLV0_PK0_PAP0_PGR2_PLR5_SIA3_SS1_SU0_SUM0_SUS0_SCIUI1_SPO0_SRVW0_SSO0_SVW1_SNLL0_TSGRA0_TSGRB0_TT2_96_TLDS0_UMLDSA0_UMLDSB0_USFGROn1_VAW1_VSn1_VW1_VWB1_VFLRP0_WSGRA0_WSGRB0_WG64_4_1_WGM8
.globl Cijk_Ailk_Bjlk_HHS_BHRZ_MT128x192x32_MI32x32x8x1_SN_1LDSB0_APM1_ABV0_ACED0_AF0EM1_AF1EM1_AMAS0_ASE_ASGT_ASLT_ASEM1_AAC0_BL1_BS1_CLR0_DTVA0_DVO0_ETSP_EPS0_EMLL0_FL0_GLVWA4_GLVWB4_GRPM1_GRVW4_GSU11_GSUAMB_GLS0_ISA90a_IU1_K1_KLA_LBSPPA0_LBSPPB0_LPA0_LPB0_LDL1_LRVW4_LWPMn1_LDW0_FMA_MIAV0_MO1_MMFGLC_NTA0_NTB0_NTC0_NTD0_NEPBS0_NLCA1_NLCB3_ONLL1_OPLV0_PK0_PAP0_PGR2_PLR5_SIA3_SS1_SU0_SUM0_SUS0_SCIUI1_SPO0_SRVW0_SSO0_SVW1_SNLL0_TSGRA0_TSGRB0_TT2_96_TLDS0_UMLDSA0_UMLDSB0_USFGROn1_VAW1_VSn1_VW1_VWB1_VFLRP0_WSGRA0_WSGRB0_WG64_4_1_WGM8
.p2align 8
.type Cijk_Ailk_Bjlk_HHS_BHRZ_MT128x192x32_MI32x32x8x1_SN_1LDSB0_APM1_ABV0_ACED0_AF0EM1_AF1EM1_AMAS0_ASE_ASGT_ASLT_ASEM1_AAC0_BL1_BS1_CLR0_DTVA0_DVO0_ETSP_EPS0_EMLL0_FL0_GLVWA4_GLVWB4_GRPM1_GRVW4_GSU11_GSUAMB_GLS0_ISA90a_IU1_K1_KLA_LBSPPA0_LBSPPB0_LPA0_LPB0_LDL1_LRVW4_LWPMn1_LDW0_FMA_MIAV0_MO1_MMFGLC_NTA0_NTB0_NTC0_NTD0_NEPBS0_NLCA1_NLCB3_ONLL1_OPLV0_PK0_PAP0_PGR2_PLR5_SIA3_SS1_SU0_SUM0_SUS0_SCIUI1_SPO0_SRVW0_SSO0_SVW1_SNLL0_TSGRA0_TSGRB0_TT2_96_TLDS0_UMLDSA0_UMLDSB0_USFGROn1_VAW1_VSn1_VW1_VWB1_VFLRP0_WSGRA0_WSGRB0_WG64_4_1_WGM8,@function
.section .rodata,#alloc
.p2align 6
.amdhsa_kernel Cijk_Ailk_Bjlk_HHS_BHRZ_MT128x192x32_MI32x32x8x1_SN_1LDSB0_APM1_ABV0_ACED0_AF0EM1_AF1EM1_AMAS0_ASE_ASGT_ASLT_ASEM1_AAC0_BL1_BS1_CLR0_DTVA0_DVO0_ETSP_EPS0_EMLL0_FL0_GLVWA4_GLVWB4_GRPM1_GRVW4_GSU11_GSUAMB_GLS0_ISA90a_IU1_K1_KLA_LBSPPA0_LBSPPB0_LPA0_LPB0_LDL1_LRVW4_LWPMn1_LDW0_FMA_MIAV0_MO1_MMFGLC_NTA0_NTB0_NTC0_NTD0_NEPBS0_NLCA1_NLCB3_ONLL1_OPLV0_PK0_PAP0_PGR2_PLR5_SIA3_SS1_SU0_SUM0_SUS0_SCIUI1_SPO0_SRVW0_SSO0_SVW1_SNLL0_TSGRA0_TSGRB0_TT2_96_TLDS0_UMLDSA0_UMLDSB0_USFGROn1_VAW1_VSn1_VW1_VWB1_VFLRP0_WSGRA0_WSGRB0_WG64_4_1_WGM8
  .amdhsa_user_sgpr_kernarg_segment_ptr 1
  .amdhsa_user_sgpr_kernarg_preload_offset 0
  .amdhsa_user_sgpr_kernarg_preload_length 0
  .amdhsa_user_sgpr_count 2
  .amdhsa_accum_offset 256 // accvgpr offset
  .amdhsa_next_free_vgpr 352 // vgprs
  .amdhsa_next_free_sgpr 64 // sgprs
  .amdhsa_group_segment_fixed_size 65536 // lds bytes
  .amdhsa_private_segment_fixed_size 0
  .amdhsa_system_sgpr_workgroup_id_x 1
  .amdhsa_system_sgpr_workgroup_id_y 1
  .amdhsa_system_sgpr_workgroup_id_z 1
  .amdhsa_system_vgpr_workitem_id 0
  .amdhsa_float_denorm_mode_32 3
  .amdhsa_float_denorm_mode_16_64 3
.end_amdhsa_kernel
.text

/******************************************/
/* Optimizations and Config:              */
/******************************************/
/* ThreadTile= 32 x 3 */
/* SubGroup= 4 x 64 */
/* VectorWidthA=1 */
/* VectorWidthB=1 */
/* GlobalLoadVectorWidthA=4, GlobalLoadVectorWidthB=4 */
/* DirectToLdsA=False */
/* DirectToLdsB=False */
/* UseSgprForGRO=False */
.amdgpu_metadata
---
amdhsa.version:
  - 1
  - 1
amdhsa.target: amdgcn-amd-amdhsa--gfx90a
amdhsa.kernels:
  - .name: Cijk_Ailk_Bjlk_HHS_BHRZ_MT128x192x32_MI32x32x8x1_SN_1LDSB0_APM1_ABV0_ACED0_AF0EM1_AF1EM1_AMAS0_ASE_ASGT_ASLT_ASEM1_AAC0_BL1_BS1_CLR0_DTVA0_DVO0_ETSP_EPS0_EMLL0_FL0_GLVWA4_GLVWB4_GRPM1_GRVW4_GSU11_GSUAMB_GLS0_ISA90a_IU1_K1_KLA_LBSPPA0_LBSPPB0_LPA0_LPB0_LDL1_LRVW4_LWPMn1_LDW0_FMA_MIAV0_MO1_MMFGLC_NTA0_NTB0_NTC0_NTD0_NEPBS0_NLCA1_NLCB3_ONLL1_OPLV0_PK0_PAP0_PGR2_PLR5_SIA3_SS1_SU0_SUM0_SUS0_SCIUI1_SPO0_SRVW0_SSO0_SVW1_SNLL0_TSGRA0_TSGRB0_TT2_96_TLDS0_UMLDSA0_UMLDSB0_USFGROn1_VAW1_VSn1_VW1_VWB1_VFLRP0_WSGRA0_WSGRB0_WG64_4_1_WGM8
    .symbol: 'Cijk_Ailk_Bjlk_HHS_BHRZ_MT128x192x32_MI32x32x8x1_SN_1LDSB0_APM1_ABV0_ACED0_AF0EM1_AF1EM1_AMAS0_ASE_ASGT_ASLT_ASEM1_AAC0_BL1_BS1_CLR0_DTVA0_DVO0_ETSP_EPS0_EMLL0_FL0_GLVWA4_GLVWB4_GRPM1_GRVW4_GSU11_GSUAMB_GLS0_ISA90a_IU1_K1_KLA_LBSPPA0_LBSPPB0_LPA0_LPB0_LDL1_LRVW4_LWPMn1_LDW0_FMA_MIAV0_MO1_MMFGLC_NTA0_NTB0_NTC0_NTD0_NEPBS0_NLCA1_NLCB3_ONLL1_OPLV0_PK0_PAP0_PGR2_PLR5_SIA3_SS1_SU0_SUM0_SUS0_SCIUI1_SPO0_SRVW0_SSO0_SVW1_SNLL0_TSGRA0_TSGRB0_TT2_96_TLDS0_UMLDSA0_UMLDSB0_USFGROn1_VAW1_VSn1_VW1_VWB1_VFLRP0_WSGRA0_WSGRB0_WG64_4_1_WGM8.kd'
    .language:                   OpenCL C
    .language_version:
      - 2
      - 0
    .args:
      - .name:            Tensor2dSizeA
        .size:            8
        .offset:          0
        .value_kind:      by_value
        .value_type:      u64
      - .name:            Tensor2dSizeB
        .size:            8
        .offset:          8
        .value_kind:      by_value
        .value_type:      u64
      - .name:            AddressD
        .size:            8
        .offset:          16
        .value_kind:      by_value
        .value_type:      u64
      - .name:            AddressC
        .size:            8
        .offset:          24
        .value_kind:      by_value
        .value_type:      u64
      - .name:            AddressA
        .size:            8
        .offset:          32
        .value_kind:      by_value
        .value_type:      u64
      - .name:            AddressB
        .size:            8
        .offset:          40
        .value_kind:      by_value
        .value_type:      u64
      - .name:            Alpha
        .size:            4
        .offset:          48
        .value_kind:      by_value
        .value_type:      u32
      - .name:            Beta
        .size:            4
        .offset:          52
        .value_kind:      by_value
        .value_type:      u32
      - .name:            StridesD
        .size:            8
        .offset:          56
        .value_kind:      by_value
        .value_type:      u64
      - .name:            StridesC
        .size:            8
        .offset:          64
        .value_kind:      by_value
        .value_type:      u64
      - .name:            StridesA
        .size:            8
        .offset:          72
        .value_kind:      by_value
        .value_type:      u64
      - .name:            StridesB
        .size:            8
        .offset:          80
        .value_kind:      by_value
        .value_type:      u64
      - .name:            SizesFree
        .size:            12
        .offset:          88
        .value_kind:      by_value
        .value_type:      u96
      - .name:            SizesSum
        .size:            4
        .offset:          100
        .value_kind:      by_value
        .value_type:      u32
      - .name:            NumWorkGroups0
        .size:            4
        .offset:          104
        .value_kind:      by_value
        .value_type:      u32
      - .name:            NumWorkGroups1
        .size:            4
        .offset:          108
        .value_kind:      by_value
        .value_type:      u32
      - .name:            NumFullBlocks
        .size:            4
        .offset:          112
        .value_kind:      by_value
        .value_type:      u32
      - .name:            WgmRemainder1
        .size:            4
        .offset:          116
        .value_kind:      by_value
        .value_type:      u32
      - .name:            MagicNumberWgmRemainder1
        .size:            4
        .offset:          120
        .value_kind:      by_value
        .value_type:      u32
    .group_segment_fixed_size:   65536
    .kernarg_segment_align:      8
    .kernarg_segment_size:       128
    .max_flat_workgroup_size:    256
    .private_segment_fixed_size: 0
    .sgpr_count:                 64
    .sgpr_spill_count:           0
    .vgpr_count:                 256
    .vgpr_spill_count:           0
    .wavefront_size:             64
...
.end_amdgpu_metadata
Cijk_Ailk_Bjlk_HHS_BHRZ_MT128x192x32_MI32x32x8x1_SN_1LDSB0_APM1_ABV0_ACED0_AF0EM1_AF1EM1_AMAS0_ASE_ASGT_ASLT_ASEM1_AAC0_BL1_BS1_CLR0_DTVA0_DVO0_ETSP_EPS0_EMLL0_FL0_GLVWA4_GLVWB4_GRPM1_GRVW4_GSU11_GSUAMB_GLS0_ISA90a_IU1_K1_KLA_LBSPPA0_LBSPPB0_LPA0_LPB0_LDL1_LRVW4_LWPMn1_LDW0_FMA_MIAV0_MO1_MMFGLC_NTA0_NTB0_NTC0_NTD0_NEPBS0_NLCA1_NLCB3_ONLL1_OPLV0_PK0_PAP0_PGR2_PLR5_SIA3_SS1_SU0_SUM0_SUS0_SCIUI1_SPO0_SRVW0_SSO0_SVW1_SNLL0_TSGRA0_TSGRB0_TT2_96_TLDS0_UMLDSA0_UMLDSB0_USFGROn1_VAW1_VSn1_VW1_VWB1_VFLRP0_WSGRA0_WSGRB0_WG64_4_1_WGM8:

/******************************************/
/* Asm syntax workarounds                 */
/******************************************/
.macro _v_add_co_u32 dst:req, cc:req, src0:req, src1:req, dpp=
   v_add_co_u32 \dst, \cc, \src0, \src1 \dpp
.endm

.macro _v_add_u32 dst:req, src0:req, src1:req, dpp=
   v_add_u32 \dst, \src0, \src1 \dpp
.endm

.macro _v_add_i32 dst:req, src0:req, src1:req, dpp=
   v_add_i32 \dst, \src0, \src1 \dpp
.endm

.macro _v_addc_co_u32 dst:req, ccOut:req, src0:req, ccIn:req, src1:req, dpp=
   v_addc_co_u32 \dst, \ccOut, \src0, \ccIn, \src1 \dpp
.endm

.macro _v_sub_co_u32 dst:req, cc:req, src0:req, src1:req, dpp=
   v_sub_co_u32 \dst, \cc, \src0, \src1 \dpp
.endm

.macro _v_sub_u32 dst:req, src0:req, src1:req, dpp=
   v_sub_u32 \dst, \src0, \src1 \dpp
.endm

.macro _v_sub_i32 dst:req, src0:req, src1:req, dpp=
   v_sub_i32 \dst, \src0, \src1 \dpp
.endm

.macro _v_add_lshl_u32 dst:req, src0:req, src1:req, shiftCnt:req
    v_add_lshl_u32 \dst, \src0, \src1, \shiftCnt
.endm

.macro _v_lshl_add_u32 dst:req, src0:req, src1:req, shiftCnt:req
    v_lshl_add_u32 \dst, \src0, \src1, \shiftCnt
.endm

.macro _v_lshl_or_b32 dst:req, src0:req, shiftCnt:req, src1:req
    v_lshl_or_b32 \dst, \src0, \shiftCnt, \src1
.endm

.macro _v_dot2acc_f32_f16 dst, src0, src1
v_dot2c_f32_f16 \dst, \src0, \src1
.endm

.macro _v_cmpx_lt_i16 dst, src0, src1=
   v_cmpx_lt_i16 \dst, \src0, \src1 
.endm

.macro _v_cmpx_lt_i32 dst, src0, src1=
   v_cmpx_lt_i32 \dst, \src0, \src1 
.endm

.macro _v_cmpx_lt_i64 dst, src0, src1=
   v_cmpx_lt_i64 \dst, \src0, \src1 
.endm

.macro _v_cmpx_lt_u16 dst, src0, src1=
   v_cmpx_lt_u16 \dst, \src0, \src1 
.endm

.macro _v_cmpx_lt_u32 dst, src0, src1=
   v_cmpx_lt_u32 \dst, \src0, \src1 
.endm

.macro _v_cmpx_lt_u64 dst, src0, src1=
   v_cmpx_lt_u64 \dst, \src0, \src1 
.endm

.macro _v_cmpx_eq_i16 dst, src0, src1=
   v_cmpx_eq_i16 \dst, \src0, \src1 
.endm

.macro _v_cmpx_eq_i32 dst, src0, src1=
   v_cmpx_eq_i32 \dst, \src0, \src1 
.endm

.macro _v_cmpx_eq_i64 dst, src0, src1=
   v_cmpx_eq_i64 \dst, \src0, \src1 
.endm

.macro _v_cmpx_eq_u16 dst, src0, src1=
   v_cmpx_eq_u16 \dst, \src0, \src1 
.endm

.macro _v_cmpx_eq_u32 dst, src0, src1=
   v_cmpx_eq_u32 \dst, \src0, \src1 
.endm

.macro _v_cmpx_eq_u64 dst, src0, src1=
   v_cmpx_eq_u64 \dst, \src0, \src1 
.endm

.macro _v_cmpx_le_i16 dst, src0, src1=
   v_cmpx_le_i16 \dst, \src0, \src1 
.endm

.macro _v_cmpx_le_i32 dst, src0, src1=
   v_cmpx_le_i32 \dst, \src0, \src1 
.endm

.macro _v_cmpx_le_i64 dst, src0, src1=
   v_cmpx_le_i64 \dst, \src0, \src1 
.endm

.macro _v_cmpx_le_u16 dst, src0, src1=
   v_cmpx_le_u16 \dst, \src0, \src1 
.endm

.macro _v_cmpx_le_u32 dst, src0, src1=
   v_cmpx_le_u32 \dst, \src0, \src1 
.endm

.macro _v_cmpx_le_u64 dst, src0, src1=
   v_cmpx_le_u64 \dst, \src0, \src1 
.endm

.macro _v_cmpx_gt_i16 dst, src0, src1=
   v_cmpx_gt_i16 \dst, \src0, \src1 
.endm

.macro _v_cmpx_gt_i32 dst, src0, src1=
   v_cmpx_gt_i32 \dst, \src0, \src1 
.endm

.macro _v_cmpx_gt_i64 dst, src0, src1=
   v_cmpx_gt_i64 \dst, \src0, \src1 
.endm

.macro _v_cmpx_gt_u16 dst, src0, src1=
   v_cmpx_gt_u16 \dst, \src0, \src1 
.endm

.macro _v_cmpx_gt_u32 dst, src0, src1=
   v_cmpx_gt_u32 \dst, \src0, \src1 
.endm

.macro _v_cmpx_gt_u64 dst, src0, src1=
   v_cmpx_gt_u64 \dst, \src0, \src1 
.endm

.macro _v_cmpx_ne_i16 dst, src0, src1=
   v_cmpx_ne_i16 \dst, \src0, \src1 
.endm

.macro _v_cmpx_ne_i32 dst, src0, src1=
   v_cmpx_ne_i32 \dst, \src0, \src1 
.endm

.macro _v_cmpx_ne_i64 dst, src0, src1=
   v_cmpx_ne_i64 \dst, \src0, \src1 
.endm

.macro _v_cmpx_ne_u16 dst, src0, src1=
   v_cmpx_ne_u16 \dst, \src0, \src1 
.endm

.macro _v_cmpx_ne_u32 dst, src0, src1=
   v_cmpx_ne_u32 \dst, \src0, \src1 
.endm

.macro _v_cmpx_ne_u64 dst, src0, src1=
   v_cmpx_ne_u64 \dst, \src0, \src1 
.endm

.macro _v_cmpx_lg_i16 dst, src0, src1=
   v_cmpx_lg_i16 \dst, \src0, \src1 
.endm

.macro _v_cmpx_lg_i32 dst, src0, src1=
   v_cmpx_lg_i32 \dst, \src0, \src1 
.endm

.macro _v_cmpx_lg_i64 dst, src0, src1=
   v_cmpx_lg_i64 \dst, \src0, \src1 
.endm

.macro _v_cmpx_lg_u16 dst, src0, src1=
   v_cmpx_lg_u16 \dst, \src0, \src1 
.endm

.macro _v_cmpx_lg_u32 dst, src0, src1=
   v_cmpx_lg_u32 \dst, \src0, \src1 
.endm

.macro _v_cmpx_lg_u64 dst, src0, src1=
   v_cmpx_lg_u64 \dst, \src0, \src1 
.endm

.macro _v_cmpx_ge_i16 dst, src0, src1=
   v_cmpx_ge_i16 \dst, \src0, \src1 
.endm

.macro _v_cmpx_ge_i32 dst, src0, src1=
   v_cmpx_ge_i32 \dst, \src0, \src1 
.endm

.macro _v_cmpx_ge_i64 dst, src0, src1=
   v_cmpx_ge_i64 \dst, \src0, \src1 
.endm

.macro _v_cmpx_ge_u16 dst, src0, src1=
   v_cmpx_ge_u16 \dst, \src0, \src1 
.endm

.macro _v_cmpx_ge_u32 dst, src0, src1=
   v_cmpx_ge_u32 \dst, \src0, \src1 
.endm

.macro _v_cmpx_ge_u64 dst, src0, src1=
   v_cmpx_ge_u64 \dst, \src0, \src1 
.endm

.macro _v_cmpx_o_i16 dst, src0, src1=
   v_cmpx_o_i16 \dst, \src0, \src1 
.endm

.macro _v_cmpx_o_i32 dst, src0, src1=
   v_cmpx_o_i32 \dst, \src0, \src1 
.endm

.macro _v_cmpx_o_i64 dst, src0, src1=
   v_cmpx_o_i64 \dst, \src0, \src1 
.endm

.macro _v_cmpx_o_u16 dst, src0, src1=
   v_cmpx_o_u16 \dst, \src0, \src1 
.endm

.macro _v_cmpx_o_u32 dst, src0, src1=
   v_cmpx_o_u32 \dst, \src0, \src1 
.endm

.macro _v_cmpx_o_u64 dst, src0, src1=
   v_cmpx_o_u64 \dst, \src0, \src1 
.endm

.macro _v_cmpx_u_i16 dst, src0, src1=
   v_cmpx_u_i16 \dst, \src0, \src1 
.endm

.macro _v_cmpx_u_i32 dst, src0, src1=
   v_cmpx_u_i32 \dst, \src0, \src1 
.endm

.macro _v_cmpx_u_i64 dst, src0, src1=
   v_cmpx_u_i64 \dst, \src0, \src1 
.endm

.macro _v_cmpx_u_u16 dst, src0, src1=
   v_cmpx_u_u16 \dst, \src0, \src1 
.endm

.macro _v_cmpx_u_u32 dst, src0, src1=
   v_cmpx_u_u32 \dst, \src0, \src1 
.endm

.macro _v_cmpx_u_u64 dst, src0, src1=
   v_cmpx_u_u64 \dst, \src0, \src1 
.endm
.macro _v_mac_f32 c:req, a:req, b:req
    v_fmac_f32 \c, \a, \b
.endmacro

/* scale global load macros */
.macro _s_load_b32 dst base offset
    s_load_dword \dst \base \offset
.endm

.macro _s_load_b64 dst base offset
    s_load_dwordx2 \dst \base \offset
.endm

.macro _s_load_b128 dst base offset
    s_load_dwordx4 \dst \base \offset
.endm

.macro _s_load_b256 dst base offset
    s_load_dwordx8 \dst \base \offset
.endm

.macro _s_load_b512 dst base offset
    s_load_dwordx16 \dst \base \offset
.endm


/* ds operation macros */
.macro _ds_load_u8 dst src offset
    ds_read_u8 \dst \src \offset
.endm

.macro _ds_load_u8_d16_hi dst src offset
    ds_read_u8_d16_hi \dst \src \offset
.endm

.macro _ds_load_u16 dst src offset
    ds_read_u16 \dst \src \offset
.endm

.macro _ds_load_u16_d16_hi dst src offset
    ds_read_u16_d16_hi \dst \src \offset
.endm

.macro _ds_load_b32 dst src offset
    ds_read_b32 \dst \src \offset
.endm

.macro _ds_load_b64 dst src offset
    ds_read_b64 \dst \src \offset
.endm

.macro _ds_load_b128 dst src offset
    ds_read_b128 \dst \src \offset
.endm

.macro _ds_store_b8 dst src offset
    ds_write_b8 \dst \src \offset
.endm

.macro _ds_store_b8_d16_hi dst src offset
    ds_write_b8_d16_hi \dst \src \offset
.endm

.macro _ds_store_b16 dst src offset
    ds_write_b16 \dst \src \offset
.endm

.macro _ds_store_b16_d16_hi dst src offset
    ds_write_b16_d16_hi \dst \src \offset
.endm

.macro _ds_store_b32 dst src offset
    ds_write_b32 \dst \src \offset
.endm

.macro _ds_store_b64 dst src offset
    ds_write_b64 \dst \src \offset
.endm

.macro _ds_store_b128 dst src offset
    ds_write_b128 \dst \src \offset
.endm

.macro _ds_load2_b32 dst src offset1 offset2
    ds_read2_b32 \dst \src \offset1 \offset2
.endm

.macro _ds_load2_b64 dst src offset1 offset2
    ds_read2_b64 \dst \src \offset1 \offset2
.endm

.macro _ds_store2_b32 dst src offset1 offset2
    ds_write2_b32 \dst \src \offset1 \offset2
.endm

.macro _ds_store2_b64 dst src offset1 offset2
    ds_write2_b64 \dst \src \offset1 \offset2
.endm


/* buffer memory operation macros */
.macro _buffer_load_b32 dst voffset base soffset offen ioffset md0 md1 md2
    buffer_load_dword \dst \voffset \base \soffset \offen \ioffset \md0 \md1 \md2
.endm

.macro _buffer_load_b64 dst voffset base soffset offen ioffset md0 md1 md2
    buffer_load_dwordx2 \dst \voffset \base \soffset \offen \ioffset \md0 \md1 \md2
.endm

.macro _buffer_load_b96 dst voffset base soffset offen ioffset md0 md1 md2
    buffer_load_dwordx3 \dst \voffset \base \soffset \offen \ioffset \md0 \md1 \md2
.endm

.macro _buffer_load_b128 dst voffset base soffset offen ioffset md0 md1 md2
    buffer_load_dwordx4 \dst \voffset \base \soffset \offen \ioffset \md0 \md1 \md2
.endm

.macro _buffer_load_d16_b16 dst voffset base soffset offen ioffset md0 md1 md2
    buffer_load_short_d16 \dst \voffset \base \soffset \offen \ioffset \md0 \md1 \md2
.endm

.macro _buffer_load_d16_hi_b16 dst voffset base soffset offen ioffset md0 md1 md2
    buffer_load_short_d16_hi \dst \voffset \base \soffset \offen \ioffset \md0 \md1 \md2
.endm

.macro _buffer_load_d16_u8 dst voffset base soffset offen ioffset md0 md1 md2
    buffer_load_ubyte_d16 \dst \voffset \base \soffset \offen \ioffset \md0 \md1 \md2
.endm

.macro _buffer_load_d16_hi_u8 dst voffset base soffset offen ioffset md0 md1 md2
    buffer_load_ubyte_d16_hi \dst \voffset \base \soffset \offen \ioffset \md0 \md1 \md2
.endm

.macro _buffer_load_u16 dst voffset base soffset offen ioffset md0 md1 md2
    buffer_load_ushort \dst \voffset \base \soffset \offen \ioffset \md0 \md1 \md2
.endm

.macro _buffer_load_b32_dtl voffset base soffset offen ioffset md0 md1 md2
    buffer_load_dword \voffset \base \soffset \offen \ioffset \md0 \md1 \md2
.endm

.macro _buffer_load_b64_dtl voffset base soffset offen ioffset md0 md1 md2
    buffer_load_dwordx2 \voffset \base \soffset \offen \ioffset \md0 \md1 \md2
.endm

.macro _buffer_load_b128_dtl voffset base soffset offen ioffset md0 md1 md2
    buffer_load_dwordx4 \voffset \base \soffset \offen \ioffset \md0 \md1 \md2
.endm

.macro _buffer_load_u16_dtl voffset base soffset offen ioffset md0 md1 md2
    buffer_load_ushort \voffset \base \soffset \offen \ioffset \md0 \md1 \md2
.endm

.macro _buffer_store_b32 src voffset base soffset offen ioffset md0 md1 md2
    buffer_store_dword \src \voffset \base \soffset \offen \ioffset \md0 \md1 \md2
.endm

.macro _buffer_store_b64 src voffset base soffset offen ioffset md0 md1 md2
    buffer_store_dwordx2 \src \voffset \base \soffset \offen \ioffset \md0 \md1 \md2
.endm

.macro _buffer_store_b96 src voffset base soffset offen ioffset md0 md1 md2
    buffer_store_dwordx3 \src \voffset \base \soffset \offen \ioffset \md0 \md1 \md2
.endm

.macro _buffer_store_b128 src voffset base soffset offen ioffset md0 md1 md2
    buffer_store_dwordx4 \src \voffset \base \soffset \offen \ioffset \md0 \md1 \md2
.endm

.macro _buffer_store_b16 src voffset base soffset offen ioffset md0 md1 md2
    buffer_store_short \src \voffset \base \soffset \offen \ioffset \md0 \md1 \md2
.endm

.macro _buffer_store_d16_hi_b16 src voffset base soffset offen ioffset md0 md1 md2
    buffer_store_short_d16_hi \src \voffset \base \soffset \offen \ioffset \md0 \md1 \md2
.endm

.macro _buffer_store_b8 src voffset base soffset offen ioffset md0 md1 md2
    buffer_store_byte \src \voffset \base \soffset \offen \ioffset \md0 \md1 \md2
.endm

.macro _buffer_store_d16_hi_b8 src voffset base soffset offen ioffset md0 md1 md2
    buffer_store_byte_d16_hi \src \voffset \base \soffset \offen \ioffset \md0 \md1 \md2
.endm

.macro _buffer_atomic_cmpswap_b32 dst voffset base soffset offen ioffset md0 md1 md2
    buffer_atomic_cmpswap \dst \voffset \base \soffset \offen \ioffset \md0 \md1 \md2
.endm

.macro _buffer_atomic_cmpswap_b64 dst voffset base soffset offen ioffset md0 md1 md2
    buffer_atomic_cmpswap_x2 \dst \voffset \base \soffset \offen \ioffset \md0 \md1 \md2
.endm


/* buffer memory operation macros */
.macro _global_load_b32 dst base src ioffset md0 md1 md2
    global_load_dword \dst \base \src \ioffset \md0 \md1 \md2
.endm

.macro _global_load_b64 dst base src ioffset md0 md1 md2
    global_load_dwordx2 \dst \base \src \ioffset \md0 \md1 \md2
.endm

.macro _global_load_b96 dst base src ioffset md0 md1 md2
    global_load_dwordx3 \dst \base \src \ioffset \md0 \md1 \md2
.endm

.macro _global_load_b128 dst base src ioffset md0 md1 md2
    global_load_dwordx4 \dst \base \src \ioffset \md0 \md1 \md2
.endm

.macro _global_load_d16_b16 dst base src ioffset md0 md1 md2
    global_load_short_d16 \dst \base \src \ioffset \md0 \md1 \md2
.endm

.macro _global_load_d16_hi_b16 dst base src ioffset md0 md1 md2
    global_load_short_d16_hi \dst \base \src \ioffset \md0 \md1 \md2
.endm

.macro _global_load_d16_u8 dst base src ioffset md0 md1 md2
    global_load_ubyte_d16 \dst \base \src \ioffset \md0 \md1 \md2
.endm

.macro _global_load_d16_hi_u8 dst base src ioffset md0 md1 md2
    global_load_ubyte_d16_hi \dst \base \src \ioffset \md0 \md1 \md2
.endm

.macro _global_load_u16 dst base src ioffset md0 md1 md2
    global_load_ushort \dst \base \src \ioffset \md0 \md1 \md2
.endm

.macro _global_store_b32 base src src2 md0 md1 md2
    global_store_dword \base \src \src2 \md0 \md1 \md2
.endm

.macro _global_store_b64 base src src2 md0 md1 md2
    global_store_dwordx2 \base \src \src2 \md0 \md1 \md2
.endm

.macro _global_store_b96 base src src2 md0 md1 md2
    global_store_dwordx3 \base \src \src2 \md0 \md1 \md2
.endm

.macro _global_store_b128 base src src2 md0 md1 md2
    global_store_dwordx4 \base \src \src2 \md0 \md1 \md2
.endm

.macro _global_store_d16_b16 base src src2 md0 md1 md2
    global_store_short \base \src \src2 \md0 \md1 \md2
.endm

.macro _global_store_d16_hi_b16 base src src2 md0 md1 md2
    global_store_short_d16_hi \base \src \src2 \md0 \md1 \md2
.endm

.macro _global_store_d16_u8 base src src2 md0 md1 md2
    global_store_ubyte_d16 \base \src \src2 \md0 \md1 \md2
.endm

.macro _global_store_d16_hi_u8 base src src2 md0 md1 md2
    global_store_ubyte_d16_hi \base \src \src2 \md0 \md1 \md2
.endm

.macro _global_store_u16 base src src2 md0 md1 md2
    global_store_ushort \base \src \src2 \md0 \md1 \md2
.endm

.macro _global_atomic_cmpswap_b32 tmp base data src ioffset md
    global_atomic_cmpswap \tmp \base \data \src \ioffset \md
.endm

.macro _global_atomic_cmpswap_b64 tmp base data src ioffset md
    global_atomic_cmpswap_x2 \tmp \base \data \src \ioffset \md
.endm


/******************************************/
/* Magic div and mod functions            */
/******************************************/
.macro V_MAGIC_DIV dstIdx:req, dividend:req, magicNumber:req, magicShift:req, magicA:req
    v_mul_hi_u32 v[\dstIdx+1], \dividend, \magicNumber
    v_mul_lo_u32 v[\dstIdx+0], \dividend, \magicA
    _v_add_u32 v[\dstIdx+0], v[\dstIdx+0], v[\dstIdx+1]
    v_lshrrev_b32 v[\dstIdx+0], \magicShift, v[\dstIdx+0]
.endm

/******************************************/
/* VGPR Assignments                       */
/******************************************/
/* ValuC range: [0-0), serializedStore enabled */
.set vgprValuC, 0
/* ValuA/B   Xn=PLR buffer idx,  In=InnerUnroll idx */
.set vgprValuA_X0_I0, 0
.set vgprValuA_X1_I0, 4
.set vgprValuA_X2_I0, 8
.set vgprValuA_X3_I0, 12
.set vgprG2LA, 52
.set vgprValuB_X0_I0, 16
.set vgprValuB_X1_I0, 22
.set vgprValuB_X2_I0, 28
.set vgprValuB_X3_I0, 34
.set vgprG2LB, 60
.set vgprLocalWriteAddrA, 40
.set vgprLocalWriteAddrB, 41
.set vgprGlobalReadOffsetA, 42
.set vgprGlobalReadOffsetB, 46
.set vgprLocalReadAddrA, 72
.set vgprLocalReadAddrB, 73
.set vgprG2Lpipe0, 74
.set vgprG2Lpipe1, 75
.set vgprFp16AltTmp, 76
.set vgprSerial, 77
/* Num VGPR=256 */
/* Num AccVGPR=96 */

/******************************************/
/* SGPR Assignments                       */
/******************************************/
.set sgprKernArgAddress, 0 // (2)
.set sgprWorkGroup0, 2 // (1)
.set sgprWorkGroup1, 3 // (1)
.set sgprWorkGroup2, 4 // (1)
.set sgprGSUSumIdx, 5 // (2)
.set sgprLoopCounterL, 7 // (1)
.set sgprOrigLoopCounter, 8 // (1)
.set sgprSrdA, 12 // (4)
.set sgprSrdB, 16 // (4)
.set sgprSrdD, 20 // (4)
.set sgprSrdC, 24 // (4)
.set sgprTensor2dSizeA, 28 // (2)
.set sgprTensor2dSizeB, 30 // (2)
.set sgprAddressD, 32 // (2)
.set sgprAddressC, 34 // (2)
.set sgprAddressA, 36 // (2)
.set sgprAddressB, 38 // (2)
.set sgprAlpha, 40 // (1)
.set sgprBeta, 41 // (1)
.set sgprStridesD, 42 // (2)
.set sgprStridesC, 44 // (2)
.set sgprStridesA, 46 // (2)
.set sgprStridesB, 48 // (2)
.set sgprSizesFree, 50 // (3)
.set sgprSizesSum, 53 // (1)
.set sgprNumWorkGroups0, 54 // (1)
.set sgprNumWorkGroups1, 55 // (1)
.set sgprNumFullBlocks, 56 // (1)
.set sgprWgmRemainder1, 57 // (1)
.set sgprMagicNumberWgmRemainder1, 58 // (1)
.set sgprShadowLimitA, 0 // (2)
.set sgprShadowLimitB, 32 // (2)
.set sgprGlobalReadIncsA, 9 // (1)
.set sgprGlobalReadIncsB, 34 // (1)
.set sgprFp16AltOffset, 35 // (1)
.set sgprFp16AltNanCheck, 36 // (2)
/* max SGPR=64 */

/* Size Assignments */
.set sgprSizeI, sgprSizesFree+0
.set sgprSizeJ, sgprSizesFree+1
.set sgprSizeK, sgprSizesFree+2
.set sgprSizeL, sgprSizesSum+0

/* Stride Assignments */
.set constStrideD0I, 1
.set sgprStrideD1J, sgprStridesD+0
.set sgprStrideDK, sgprStridesD+1
.set constStrideC0I, 1
.set sgprStrideC1J, sgprStridesC+0
.set sgprStrideCK, sgprStridesC+1
.set constStrideA0I, 1
.set sgprStrideAL, sgprStridesA+0
.set sgprStrideAK, sgprStridesA+1
.set constStrideB1J, 1
.set sgprStrideBL, sgprStridesB+0
.set sgprStrideBK, sgprStridesB+1

.set MT0, 128
.set MT1, 192
.set DepthU, 32
.set GSU, 11
.set BpeA, 2
.set BpeALog2, 1
.set BpeB, 2
.set BpeBLog2, 1
/* Number of elements to shift-left SRD */
.set SrdShiftLeftA, 4
.set SrdShiftLeftB, 4
/* 2GB limit - set offsets to -1 to exceed this and clamp */
.set BufferLimitA, 0xffffffff
.set BufferLimitB, 0xffffffff
.set BufferOOB, 0xfffff000

/******************************************/
/* Bits 127:96 of SRD.                    */
/* hex: 0x00020000                        */
/* dst_sel_x (3b): 0                      */
/* dst_sel_y (3b): 0                      */
/* dst_sel_z (3b): 0                      */
/* dst_sel_w (3b): 0                      */
/* num_format (3b): 0                     */
/* data_format (4b): 4                    */
/* user_vm_enable (1b): 0                 */
/* user_vm_mode (1b): 0                   */
/* index_stride (2b): 0                   */
/* add_tid_enable (1b): 0                 */
/* _unusedA (3b): 0                       */
/* nv (1b): 0                             */
/* _unusedB (2b): 0                       */
/* type (2b): 0                           */
/******************************************/
.set Srd127_96, 0x00020000

/* Global Offset A */
.macro GLOBAL_OFFSET_A vgprAddr:req vgprOffset0I:req vgprOffsetL:req vgprTmp:req
v_mul_lo_u32 v[\vgprTmp+0], s[sgprStrideAL], v[\vgprOffsetL] // mul d1 lower
_v_add_co_u32 v[\vgprAddr+0], vcc, v[\vgprOffset0I], v[\vgprTmp+0] // accumulate K lower
_v_add_u32 v[\vgprAddr+0], 0x4, v[\vgprAddr+0]     // add prepad for pointer shift
v_lshlrev_b32 v[\vgprAddr+0], 0x1, v[\vgprAddr+0]  // offset *= bytes/element
.endm

/* Global Offset B */
.macro GLOBAL_OFFSET_B vgprAddr:req vgprOffset1J:req vgprOffsetL:req vgprTmp:req
v_mul_lo_u32 v[\vgprTmp+0], s[sgprStrideBL], v[\vgprOffsetL] // mul d1 lower
_v_add_co_u32 v[\vgprAddr+0], vcc, v[\vgprOffset1J], v[\vgprTmp+0] // accumulate K lower
_v_add_u32 v[\vgprAddr+0], 0x4, v[\vgprAddr+0]     // add prepad for pointer shift
v_lshlrev_b32 v[\vgprAddr+0], 0x1, v[\vgprAddr+0]  // offset *= bytes/element
.endm

/******************************************/
/* Dynamic Scalar Divide: vQuotient=vDividend/vDivisor; vRemainder=vDividend%vDivisor; */
/******************************************/
.macro DYNAMIC_VECTOR_DIVIDE vQuotient vRemainder vDividend vDivisor vTmp0 vTmp1 sTmp
v_cvt_f32_u32 v[\vQuotient], v[\vDivisor]          // 
v_rcp_f32 v[\vQuotient], v[\vQuotient]             // 
v_mul_f32 v[\vQuotient], 0x4f800000, v[\vQuotient] // 
v_cvt_u32_f32 v[\vQuotient], v[\vQuotient]         // 
v_mul_lo_u32 v[\vRemainder], v[\vDivisor], v[\vQuotient] // 
v_mul_hi_u32 v[\vTmp0], v[\vDivisor], v[\vQuotient] // 
_v_sub_co_u32 v[\vTmp1], vcc, 0x0, v[\vRemainder]  // 
v_cmp_ne_i32 s[\sTmp:\sTmp+1], 0x0, v[\vTmp0]      // 
v_cndmask_b32 v[\vRemainder], v[\vTmp1], v[\vRemainder], s[\sTmp:\sTmp+1] // 
v_mul_hi_u32 v[\vRemainder], v[\vRemainder], v[\vQuotient] // 
_v_sub_co_u32 v[\vTmp0], vcc, v[\vQuotient], v[\vRemainder] // 
_v_add_co_u32 v[\vQuotient], vcc, v[\vQuotient], v[\vRemainder] // 
v_cndmask_b32 v[\vQuotient], v[\vQuotient], v[\vTmp0], s[\sTmp:\sTmp+1] // 
v_mul_hi_u32 v[\vQuotient], v[\vQuotient], v[\vDividend] // 
v_mul_lo_u32 v[\vRemainder], v[\vQuotient], v[\vDivisor] // 
_v_sub_co_u32 v[\vTmp0], vcc, v[\vDividend], v[\vRemainder] // 
v_cmp_ge_u32 s[\sTmp:\sTmp+1], v[\vDividend], v[\vRemainder] // 
_v_add_co_u32 v[\vRemainder], vcc, 0x1, v[\vQuotient] // 
_v_add_co_u32 v[\vTmp1], vcc, -1, v[\vQuotient]    // 
v_cmp_le_u32 vcc, v[\vDivisor], v[\vTmp0]          // 
s_and_b64 vcc, s[\sTmp:\sTmp+1], vcc               // 
v_cndmask_b32 v[\vQuotient], v[\vQuotient], v[\vRemainder], vcc // 
v_cndmask_b32 v[\vQuotient], v[\vTmp1], v[\vQuotient], s[\sTmp:\sTmp+1] // 
v_cmp_ne_i32 vcc, 0x0, v[\vDivisor]                // 
v_cndmask_b32 v[\vQuotient], -1, v[\vQuotient], vcc // final result
v_mul_lo_u32 v[\vRemainder], v[\vQuotient], v[\vDivisor] // 
_v_sub_co_u32 v[\vRemainder], vcc, v[\vDividend], v[\vRemainder] // final result
.endm


	;; [unrolled: 1-line block ×3, first 2 shown]
/******************************************/
/* Allocate Resources                     */
/******************************************/

Cijk_Ailk_Bjlk_HHS_BHRZ_MT128x192x32_MI32x32x8x1_SN_1LDSB0_APM1_ABV0_ACED0_AF0EM1_AF1EM1_AMAS0_ASE_ASGT_ASLT_ASEM1_AAC0_BL1_BS1_CLR0_DTVA0_DVO0_ETSP_EPS0_EMLL0_FL0_GLVWA4_GLVWB4_GRPM1_GRVW4_GSU11_GSUAMB_GLS0_ISA90a_IU1_K1_KLA_LBSPPA0_LBSPPB0_LPA0_LPB0_LDL1_LRVW4_LWPMn1_LDW0_FMA_MIAV0_MO1_MMFGLC_NTA0_NTB0_NTC0_NTD0_NEPBS0_NLCA1_NLCB3_ONLL1_OPLV0_PK0_PAP0_PGR2_PLR5_SIA3_SS1_SU0_SUM0_SUS0_SCIUI1_SPO0_SRVW0_SSO0_SVW1_SNLL0_TSGRA0_TSGRB0_TT2_96_TLDS0_UMLDSA0_UMLDSB0_USFGROn1_VAW1_VSn1_VW1_VWB1_VFLRP0_WSGRA0_WSGRB0_WG64_4_1_WGM8_preloaded: // Kernel start when preloading

/* Load Kernel Args */
_s_load_b512 s[28:43], s[sgprKernArgAddress:sgprKernArgAddress+1], 0x0 // 
_s_load_b256 s[44:51], s[sgprKernArgAddress:sgprKernArgAddress+1], 0x40 // 
_s_load_b128 s[52:55], s[sgprKernArgAddress:sgprKernArgAddress+1], 0x60 // 
_s_load_b64 s[56:57], s[sgprKernArgAddress:sgprKernArgAddress+1], 0x70 // 
_s_load_b32 s58, s[sgprKernArgAddress:sgprKernArgAddress+1], 0x78 // 
s_mov_b32 m0, 0x10000                              // LDS clamp at 65536 bytes
v_mov_b32 v[vgprSerial], v0                        // thread serial id

/******************************************/
/* Local Read Addresses                   */
/******************************************/


/* local read addresses: tile assignments a/b */

/*lr0I*/
v_and_b32 v1, 63, v[vgprSerial]                    // 0. thread id in wave: wtid = tid % wavelength(64)
v_and_b32 v0, 31, v1                               // 1. N offset: nIdx = wtid % MI_N(32)
                                                   // 1. N offset: nOffset = nIdx * nStride(1) (multiplier is 1, do nothing)
                                                   // 2. block offset: bnIdx = bnIdx % num1DBlocks(1) is 0. do nothing
                                                   // 4. apply VectorWidth: bnOffset = bnOffset * vw(1) (multiplier is 1, do nothing)
v_lshrrev_b32 v1, 5, v1                            // 5. K offset: kIdx = wtid / (MIN(32) * MIBB(1))
v_lshlrev_b32 v1, 0x9, v1                          // 5. K offset: lrKOffset = kIdx * mStride(512)
_v_add_u32 v0, v1, v0                              // 6. offset in wave: lrOffset = bnOffset + lrKOffset
v_lshrrev_b32 v2, 6, v[vgprSerial]                 // 7. wave offset in N dimen: wtid = tid / dividedForWaveId(64)
v_and_b32 v1, 1, v2                                // 7. wave offset in M dimen: wtid0 = wtid / num1DWaves(2)
v_lshlrev_b32 v1, 0x5, v1                          // 7. wave offset in M dimen: wOffset = wtid0 * W0Stride(32)
_v_add_u32 v0, v1, v0                              // 8. final local read offset: flrOffset = lrOffset + WOffset
/*lr1J*/
v_and_b32 v2, 63, v[vgprSerial]                    // 0. thread id in wave: wtid = tid % wavelength(64)
v_and_b32 v1, 31, v2                               // 1. N offset: nIdx = wtid % MI_N(32)
                                                   // 1. N offset: nOffset = nIdx * nStride(1) (multiplier is 1, do nothing)
                                                   // 2. block offset: bnIdx = bnIdx % num1DBlocks(1) is 0. do nothing
                                                   // 4. apply VectorWidth: bnOffset = bnOffset * vw(1) (multiplier is 1, do nothing)
v_lshrrev_b32 v2, 5, v2                            // 5. K offset: kIdx = wtid / (MIN(32) * MIBB(1))
s_mov_b32 s9, 0x300                                // 5. K offset: lrKOffset = kIdx * mStride(768)
v_mul_lo_u32 v2, s9, v2                            // 5. K offset: lrKOffset = kIdx * mStride(768)
_v_add_u32 v1, v2, v1                              // 6. offset in wave: lrOffset = bnOffset + lrKOffset
v_lshrrev_b32 v3, 7, v[vgprSerial]                 // 7. wave offset in N dimen: wtid = tid / dividedForWaveId(128)
v_and_b32 v2, 1, v3                                // 7. wave offset in M dimen: wtid0 = wtid / num1DWaves(2)
v_lshlrev_b32 v2, 0x5, v2                          // 7. wave offset in M dimen: wOffset = wtid0 * W0Stride(32)
_v_add_u32 v1, v2, v1                              // 8. final local read offset: flrOffset = lrOffset + WOffset


/* local read addresses: final offsets a */

v_lshlrev_b32 v[vgprLocalReadAddrA], 0x1, v0       // Final Offset: offset = (lro0)*bpe


/* local read addresses: final offsets b */

v_lshlrev_b32 v[vgprLocalReadAddrB], 0x1, v1       // Final Offset: offset = (lro1)*bpe


/* local read addresses: declare addresses a */

/* N/A */


/* local read addresses: declare addresses b */

_v_add_co_u32 v[vgprLocalReadAddrB+0], vcc, 0x2000, v[vgprLocalReadAddrB+0] //  += LdsOffsetB (lower)


/* global read addresses: tile offset assignment a */

/* LVCA = 32 */
/* v0 = (local)groA-tile = serial%LVCA (note (wgA*MTA) will be added to SRD) */
/* v1 = groA-unroll = serial/LVCA */
v_lshrrev_b32 v1, 5, v[vgprSerial]                 // v1 = v[vgprSerial] / 32
v_and_b32 v0, 31, v[vgprSerial]                    // v0 = v[vgprSerial] % 32
/* gro-tile *= glvw */
v_lshlrev_b32 v0, 0x2, v0                          // v0 = v0 * 4
v_mov_b32 v2, v1                                   // copy for GlobalSplitU


/* global read addresses: tile offset assignment b */

/* LVCB = 16 */
/* v3 = (local)groB-tile = serial%LVCB (note (wgB*MTB) will be added to SRD) */
/* v4 = groB-unroll = serial/LVCB */
v_lshrrev_b32 v4, 4, v[vgprSerial]                 // v4 = v[vgprSerial] / 16
v_and_b32 v3, 15, v[vgprSerial]                    // v3 = v[vgprSerial] % 16
/* gro-tile *= glvw */
v_lshlrev_b32 v3, 0x2, v3                          // v3 = v3 * 4
v_mov_b32 v5, v4                                   // copy for GlobalSplitU


/******************************************/
/* Local Write Addresses                  */
/******************************************/

/* lwaTileAssignmentA = v0 */

/* lwaTileAssignmentB = v3 */

/* lwaUnrollAssignmentA = v2 */

/* lwaUnrollAssignmentB = v5 */


/* local write addresses: first offset a */

v_mul_u32_u24 v[vgprLocalWriteAddrA], 0x80, v2     // lwAL**(MTA + PAD)
_v_add_lshl_u32 v[vgprLocalWriteAddrA], v0, v[vgprLocalWriteAddrA], 0x1 // lwFOA = (lwAA + lwAL*(MT0I+PAD))*bpe


/* local write addresses: first offset b */

v_mul_u32_u24 v[vgprLocalWriteAddrB], 0xc0, v5     // lwBL**(MTB + PAD)
_v_add_lshl_u32 v[vgprLocalWriteAddrB], v3, v[vgprLocalWriteAddrB], 0x1 // lwFOB = (lwBB + lwBL*(MT1J+PAD))*bpe
_v_add_co_u32 v[vgprLocalWriteAddrB], vcc, 0x2000, v[vgprLocalWriteAddrB] // lwFOB = lwB1J + lwBL*MT1J + LDS_OFFSET_B=4096*2


	;; [unrolled: 1-line block ×7, first 2 shown]
s_waitcnt lgkmcnt(0)                               // wait for 124 bytes of kern args
s_mov_b64 s[sgprSrdC+0:sgprSrdC+0+1], s[sgprAddressC+0:sgprAddressC+0+1] // copy addressC
s_mov_b64 s[sgprSrdD+0:sgprSrdD+0+1], s[sgprAddressD+0:sgprAddressD+0+1] // copy addressD
s_sub_u32 s[sgprSrdA+0], s[sgprAddressA+0], 8      // pre-pad to make room for possible pointer shift
s_subb_u32 s[sgprSrdA+1], s[sgprAddressA+1], 0     // pre-pad to make room for possible pointer shift
s_sub_u32 s[sgprSrdB+0], s[sgprAddressB+0], 8      // pre-pad to make room for possible pointer shift
s_subb_u32 s[sgprSrdB+1], s[sgprAddressB+1], 0     // pre-pad to make room for possible pointer shift

.set AddressD, UNDEF
.set AddressC, UNDEF
.set AddressA, UNDEF
.set AddressB, UNDEF

/* Short circuit condition if Alpha == 0, then sumDims=0 */
v_cmp_eq_f32 vcc, s[sgprAlpha], 0.0                // Alpha == 0.0f ?
s_cbranch_vccz label_AlphaNonZero                  // branch if alpha != 0
s_mov_b32 s[sgprSizesSum+0], 0x0                   // Set summation dim=0 if Alpha == 0
label_AlphaNonZero:
s_mov_b32 s[sgprFp16AltOffset], 0x7FFF             // Set rounding coeff if Fp16AltImplNtz enabled


	;; [unrolled: 1-line block ×3, first 2 shown]
/******************************************/
/* Begin setupNewTile, isPap=False           */
/******************************************/


/* global read addresses: work-group */

/* graWorkGroup mapping */
// GSU-not-WGMapRR :nwg1 = (size1J + MT1J - 1) / MT1J;
s_mov_b32 s62, s[sgprWorkGroup1]                   // copying for divisor
s_mov_b32 s61, 0x0                                 // STATIC_DIV: divisior=11
s_mul_i32 s60, 0x2e8b, s62                         // tmp1 = dividend * magic hi
s_lshl_b64 s[60:61], s[60:61], 0x10                // left shift 16 bits
s_mul_i32 s[sgprWorkGroup1], s62, 0xa2e9           // tmp0 = dividend * magic lo
s_add_u32 s60, s[sgprWorkGroup1], s60              // add lo
s_addc_u32 s61, s61, 0x0                           // add hi
s_lshr_b64 s[60:61], s[60:61], 0x21                // tmp1 = (dividend * magic) << shift
s_mov_b32 s[sgprWorkGroup1], s60                   // quotient
s_mul_i32 s60, s[sgprWorkGroup1], 0xb              // quotient*divisor
s_sub_u32 s[sgprGSUSumIdx], s62, s60               // rReg = dividend - quotient*divisor
s_mov_b32 s63, 0x10000001L                         // magic number for WGM==8
s_mul_hi_u32 s61, s[sgprWorkGroup1], s63           // s_magic mul
s_mul_i32 s60, s[sgprWorkGroup1], s63              // s_magic mul
s_lshr_b64 s[60:61], s[60:61], 31                  // sMagicDiv
s_mul_i32 s61, s60, 8                              // quotient * non-magic divisor
s_sub_u32 s61, s[sgprWorkGroup1], s61              // WorkGroup1=remainder
s_mul_i32 s61, s61, s[sgprNumWorkGroups0]          // (wg1 % WGM)*nwg0
s_add_u32 s61, s61, s[sgprWorkGroup0]              // wgSerial = wg0 + (wg1 % WGM)*nwg1
s_cmp_ge_u32 s60, s[sgprNumFullBlocks]             // blockId >= numFullBlocks ?
s_cmov_b32 s63, s[sgprMagicNumberWgmRemainder1]    // 
s_cselect_b32 s62, s[sgprWgmRemainder1], 8         // 
s_mul_hi_u32 s3, s61, s63                          // s_magic mul
s_mul_i32 s2, s61, s63                             // s_magic mul
s_lshr_b64 s[2:3], s[2:3], 31                      // sMagicDiv
s_mul_i32 s[sgprWorkGroup1], s[sgprWorkGroup0], s62 // quotient * non-magic divisor
s_sub_u32 s[sgprWorkGroup1], s61, s[sgprWorkGroup1] // WorkGroup1=remainder
s_mul_i32 s60, s60, 8                              // blockId * WGM
s_add_u32 s[sgprWorkGroup1], s[sgprWorkGroup1], s60 // wg1 += blockId * WGM


/* global read addresses: unroll assignment a */

/* v1 */


/* global read addresses: unroll assignment b */

/* v4 */


/* global read addresses: other free assignments */

/* s[sgprWorkGroup2] */


/* global read addresses: tile offsets a */

v_mov_b32 v6, v0                                   // groA0I_0


/* global read addresses: tile offsets b */

v_mov_b32 v7, v3                                   // groB1J_0
_v_add_co_u32 v8, vcc, 64, v7                      // groB1J_1 += LSCB
_v_add_co_u32 v9, vcc, 64, v8                      // groB1J_2 += LSCB


/* global read addresses: unroll offsets a */

v_mov_b32 v10, v1                                  // groAL_0
_v_add_co_u32 v11, vcc, 8, v10                     // groAL_1 + LSPA
_v_add_co_u32 v12, vcc, 8, v11                     // groAL_2 + LSPA
_v_add_co_u32 v13, vcc, 8, v12                     // groAL_3 + LSPA


/* global read addresses: unroll offsets b */

v_mov_b32 v14, v4                                  // groBL_0
_v_add_co_u32 v15, vcc, 16, v14                    // groBL_1 + LSPB


/* global read addresses: shift a */

s_mul_i32 s38, s[sgprWorkGroup0], 128              // WorkGroup[01] * MT
s_sub_u32 s38, s[sgprSizeI], s38                   // edge = Size0I - WG*MT
s_sub_u32 s38, s38, 4                              // edge -= margin(4)
v_mov_b32 v16, s38                                 // edge vgpr = Size0I- WG*MT - margin(4)
v_min_i32 v6, v16, v6                              // offset = (offset < edge) ? offset(v6) : edge(v16)


/* global read addresses: shift b */

s_mul_i32 s38, s[sgprWorkGroup1], 192              // WorkGroup[01] * MT
s_sub_u32 s38, s[sgprSizeJ], s38                   // edge = Size1J - WG*MT
s_sub_u32 s38, s38, 4                              // edge -= margin(4)
v_mov_b32 v16, s38                                 // edge vgpr = Size1J- WG*MT - margin(4)
v_min_i32 v7, v16, v7                              // offset = (offset < edge) ? offset(v7) : edge(v16)
v_min_i32 v8, v16, v8                              // offset = (offset < edge) ? offset(v8) : edge(v16)
	;; [unrolled: 1-line block ×3, first 2 shown]


/* global read addresses: final offsets a */

GLOBAL_OFFSET_A vgprGlobalReadOffsetA+0,  6, 10, 16 // gROA_0_0_0_0
GLOBAL_OFFSET_A vgprGlobalReadOffsetA+1,  6, 11, 16 // gROA_0_0_1_0
GLOBAL_OFFSET_A vgprGlobalReadOffsetA+2,  6, 12, 16 // gROA_0_0_2_0
GLOBAL_OFFSET_A vgprGlobalReadOffsetA+3,  6, 13, 16 // gROA_0_0_3_0


/* global read addresses: final offsets b */

GLOBAL_OFFSET_B vgprGlobalReadOffsetB+0,  7, 14, 10 // gROB_0_0_0_0
GLOBAL_OFFSET_B vgprGlobalReadOffsetB+1,  8, 14, 10 // gROB_1_0_0_0
GLOBAL_OFFSET_B vgprGlobalReadOffsetB+2,  9, 14, 10 // gROB_2_0_0_0
GLOBAL_OFFSET_B vgprGlobalReadOffsetB+3,  7, 15, 10 // gROB_0_0_1_0
GLOBAL_OFFSET_B vgprGlobalReadOffsetB+4,  8, 15, 10 // gROB_1_0_1_0
GLOBAL_OFFSET_B vgprGlobalReadOffsetB+5,  9, 15, 10 // gROB_2_0_1_0


/* global read addresses: addresses a */

/* max read offset = size[n] * stride[n-1] */
s_mul_hi_u32 s61, s[sgprWorkGroup0], 128           // WorkGroup[01] * MT
s_mul_i32 s60, s[sgprWorkGroup0], 128              // WorkGroup[01] * MT
s_mul_hi_u32 s39, 32, s[sgprGSUSumIdx]             // gsuOffset = DepthU*bpe*GSUSumIdx
s_mul_i32 s38, 32, s[sgprGSUSumIdx]                // gsuOffset = DepthU*bpe*GSUSumIdx
s_mul_hi_u32 s39, s38, s[sgprStrideAL]             // tlu=1, scaled unroll-offset by stride
s_mul_i32 s38, s38, s[sgprStrideAL]                // tlu=1, scaled unroll-offset by stride
s_add_u32 s60, s60, s38                            // accum GsuOffset term to tilestart
s_addc_u32 s61, s61, s39                           // accum GsuOffset term to tilestart
s_sub_u32 s[sgprShadowLimitA+0], s[sgprTensor2dSizeA], s60 // sub tileStart
s_subb_u32 s[sgprShadowLimitA+1], s[sgprTensor2dSizeA+1], s61 // sub tileStart
s_lshl_b64 s[sgprShadowLimitA:sgprShadowLimitA+1], s[sgprShadowLimitA:sgprShadowLimitA+1], 0x1 // Set limit to use bytes
s_add_u32 s[sgprShadowLimitA+0], s[sgprShadowLimitA+0], 8 // extend limit for pre-pad
s_addc_u32 s[sgprShadowLimitA+1], s[sgprShadowLimitA+1], 0 // extend limit for pre-pad
s_cmp_eq_u32 s[sgprShadowLimitA+1], 0              // are we within 2^32?
s_cselect_b32 s[sgprSrdA+2], s[sgprShadowLimitA+0], BufferLimitA // Move shadow to real if we are within 2^32
s_mul_hi_u32 s39, s[sgprStrideAK], s[sgprWorkGroup2] // Stride*WG
s_mul_i32 s38, s[sgprStrideAK], s[sgprWorkGroup2]  // Stride*WG
s_add_u32 s60, s60, s38                            // accum wg term to tilestart
s_addc_u32 s61, s61, s39                           // accum wg term to tilestart
s_lshl_b64 s[60:61], s[60:61], 0x1                 // tileStart *= BPE
s_add_u32 s[sgprSrdA+0], s[sgprSrdA+0], s60        // SRD base = Address+ tileStart0
s_addc_u32 s[sgprSrdA+1], s[sgprSrdA+1], s61       // SRD base = Address+ tileStart1
s_mov_b32 s[sgprSrdA+3], Srd127_96                 // Set bits 127_96 in SRD


/* global read addresses: addresses b */

/* max read offset = size[n] * stride[n-1] */
s_mul_hi_u32 s61, s[sgprWorkGroup1], 192           // WorkGroup[01] * MT
s_mul_i32 s60, s[sgprWorkGroup1], 192              // WorkGroup[01] * MT
s_mul_hi_u32 s39, 32, s[sgprGSUSumIdx]             // gsuOffset = DepthU*bpe*GSUSumIdx
s_mul_i32 s38, 32, s[sgprGSUSumIdx]                // gsuOffset = DepthU*bpe*GSUSumIdx
s_mul_hi_u32 s39, s38, s[sgprStrideBL]             // tlu=1, scaled unroll-offset by stride
s_mul_i32 s38, s38, s[sgprStrideBL]                // tlu=1, scaled unroll-offset by stride
s_add_u32 s60, s60, s38                            // accum GsuOffset term to tilestart
s_addc_u32 s61, s61, s39                           // accum GsuOffset term to tilestart
s_sub_u32 s[sgprShadowLimitB+0], s[sgprTensor2dSizeB], s60 // sub tileStart
s_subb_u32 s[sgprShadowLimitB+1], s[sgprTensor2dSizeB+1], s61 // sub tileStart
s_lshl_b64 s[sgprShadowLimitB:sgprShadowLimitB+1], s[sgprShadowLimitB:sgprShadowLimitB+1], 0x1 // Set limit to use bytes
s_add_u32 s[sgprShadowLimitB+0], s[sgprShadowLimitB+0], 8 // extend limit for pre-pad
s_addc_u32 s[sgprShadowLimitB+1], s[sgprShadowLimitB+1], 0 // extend limit for pre-pad
s_cmp_eq_u32 s[sgprShadowLimitB+1], 0              // are we within 2^32?
s_cselect_b32 s[sgprSrdB+2], s[sgprShadowLimitB+0], BufferLimitB // Move shadow to real if we are within 2^32
s_mul_hi_u32 s39, s[sgprStrideBK], s[sgprWorkGroup2] // Stride*WG
s_mul_i32 s38, s[sgprStrideBK], s[sgprWorkGroup2]  // Stride*WG
s_add_u32 s60, s60, s38                            // accum wg term to tilestart
s_addc_u32 s61, s61, s39                           // accum wg term to tilestart
s_lshl_b64 s[60:61], s[60:61], 0x1                 // tileStart *= BPE
s_add_u32 s[sgprSrdB+0], s[sgprSrdB+0], s60        // SRD base = Address+ tileStart0
s_addc_u32 s[sgprSrdB+1], s[sgprSrdB+1], s61       // SRD base = Address+ tileStart1
s_mov_b32 s[sgprSrdB+3], Srd127_96                 // Set bits 127_96 in SRD


/* global read addresses: increments a */

s_mul_i32 s[sgprGlobalReadIncsA+0], DepthU*BpeA*11, s[sgprStrideAL] // incrA unrollIdx)


/* global read addresses: increments b */

s_mul_i32 s[sgprGlobalReadIncsB+0], DepthU*BpeB*11, s[sgprStrideBL] // incrB unrollIdx)

/* declare loop num iterations */


s_lshr_b32 s[sgprLoopCounterL], s[sgprSizesSum+0], 5 // s[sgprLoopCounterL] = s[sgprSizesSum+0] / 32
v_mov_b32 v2, s[sgprLoopCounterL]                  // copy for divide IterGsu
s_mov_b32 s60, 0x2e8ba2e9                          // v0 = v2 / 11
v_mul_hi_u32 v0, v2, s60                           // v0 = v2 / 11
v_lshrrev_b32 v0, 0x1, v0                          // v0 = v2 / 11
s_mov_b32 s60, 0xb                                 // v1 = v2 % 11
v_mul_lo_u32 v1, v0, s60                           // v1 = v2 % 11
_v_sub_u32 v1, v2, v1                              // v1 = v2 % 11
v_readfirstlane_b32 s[sgprLoopCounterL], v0        // 
v_readfirstlane_b32 s[sgprGSUSumIdx+1], v1         // 
s_add_u32 s60, 1, s[sgprLoopCounterL]              // tmp<-numIterMyWg+
s_cmp_lt_u32 s[sgprGSUSumIdx], s[sgprGSUSumIdx+1]  // gsuSumIdx < numIterPerWgRemainder
s_cmov_b32 s[sgprLoopCounterL], s60                // numIterMyWg++ if needed
s_mov_b32 s[sgprOrigLoopCounter], s[sgprLoopCounterL] // copy loop counter

/* local read addresses: init pointers a */


/* localReadInitPointers */

/* local read addresses: init pointers b */


/* localReadInitPointers */


/* prefetch: global -> local */

s_cmp_eq_u32 s[sgprLoopCounterL], 0                // at last iteration?
s_cbranch_scc1 ShadowInitStart_10                  // skip to ShadowInitStart iter b/c numIter==0


_buffer_load_b64 v[vgprG2LA+0:vgprG2LA+0+1], v[vgprGlobalReadOffsetA+0], s[sgprSrdA:sgprSrdA+3], 0, offen offset:0 // G -> Reg 0_0_0_0
_buffer_load_b64 v[vgprG2LA+2:vgprG2LA+2+1], v[vgprGlobalReadOffsetA+1], s[sgprSrdA:sgprSrdA+3], 0, offen offset:0 // G -> Reg 0_0_1_0
_buffer_load_b64 v[vgprG2LA+4:vgprG2LA+4+1], v[vgprGlobalReadOffsetA+2], s[sgprSrdA:sgprSrdA+3], 0, offen offset:0 // G -> Reg 0_0_2_0
_buffer_load_b64 v[vgprG2LA+6:vgprG2LA+6+1], v[vgprGlobalReadOffsetA+3], s[sgprSrdA:sgprSrdA+3], 0, offen offset:0 // G -> Reg 0_0_3_0


_buffer_load_b64 v[vgprG2LB+0:vgprG2LB+0+1], v[vgprGlobalReadOffsetB+0], s[sgprSrdB:sgprSrdB+3], 0, offen offset:0 // G -> Reg 0_0_0_0
_buffer_load_b64 v[vgprG2LB+2:vgprG2LB+2+1], v[vgprGlobalReadOffsetB+1], s[sgprSrdB:sgprSrdB+3], 0, offen offset:0 // G -> Reg 1_0_0_0
_buffer_load_b64 v[vgprG2LB+4:vgprG2LB+4+1], v[vgprGlobalReadOffsetB+2], s[sgprSrdB:sgprSrdB+3], 0, offen offset:0 // G -> Reg 2_0_0_0
_buffer_load_b64 v[vgprG2LB+6:vgprG2LB+6+1], v[vgprGlobalReadOffsetB+3], s[sgprSrdB:sgprSrdB+3], 0, offen offset:0 // G -> Reg 0_0_1_0
_buffer_load_b64 v[vgprG2LB+8:vgprG2LB+8+1], v[vgprGlobalReadOffsetB+4], s[sgprSrdB:sgprSrdB+3], 0, offen offset:0 // G -> Reg 1_0_1_0
_buffer_load_b64 v[vgprG2LB+10:vgprG2LB+10+1], v[vgprGlobalReadOffsetB+5], s[sgprSrdB:sgprSrdB+3], 0, offen offset:0 // G -> Reg 2_0_1_0


/* global read inc A loopL */
s_add_u32 s[sgprSrdA+0], s[sgprSrdA+0], s[sgprGlobalReadIncsA+0] // gra SRD += inc(lower)
s_addc_u32  s[sgprSrdA+1], s[sgprSrdA+1], 0        // gra SRD += inc(upper)
s_sub_u32 s[sgprShadowLimitA+0], s[sgprShadowLimitA+0], s[sgprGlobalReadIncsA+0] // limit -= inc)
s_subb_u32 s[sgprShadowLimitA+1], s[sgprShadowLimitA+1], 0 // limit -= inc)
s_cmp_eq_u32 s[sgprShadowLimitA+1], 0              // are we within 2^32?
s_cmov_b32 s[sgprSrdA+2], s[sgprShadowLimitA+0]    // Move shadow to real if we are within 2^32

/* global read inc B loopL */
s_add_u32 s[sgprSrdB+0], s[sgprSrdB+0], s[sgprGlobalReadIncsB+0] // gra SRD += inc(lower)
s_addc_u32  s[sgprSrdB+1], s[sgprSrdB+1], 0        // gra SRD += inc(upper)
s_sub_u32 s[sgprShadowLimitB+0], s[sgprShadowLimitB+0], s[sgprGlobalReadIncsB+0] // limit -= inc)
s_subb_u32 s[sgprShadowLimitB+1], s[sgprShadowLimitB+1], 0 // limit -= inc)
s_cmp_eq_u32 s[sgprShadowLimitB+1], 0              // are we within 2^32?
s_cmov_b32 s[sgprSrdB+2], s[sgprShadowLimitB+0]    // Move shadow to real if we are within 2^32


/******************************************/
/* End setupNewTile, isPap=False             */
/******************************************/

ShadowInitStart_10: // 

s_mov_b32 s[sgprSrdD+2], BufferOOB                 // 
s_mov_b32 s[sgprSrdD+3], Srd127_96                 // Set bits 127_96 in post-loop SRD

s_mov_b32 s[sgprSrdC+2], BufferOOB                 // 
s_mov_b32 s[sgprSrdC+3], Srd127_96                 // Set bits 127_96 in post-loop SRD


s_mul_i32 s62, MT1, s[sgprWorkGroup1]              // <- wg1*MT1
s_mul_hi_u32 s61, s62, s[sgprStrideC1J]            // CScale s62 by Stride
s_mul_i32 s60, s62, s[sgprStrideC1J]               // CScale s62 by Stride
s_lshl_b64 s[60:61], s[60:61], 2                   // scale by bpe
s_add_u32 s[sgprSrdC+0], s[sgprSrdC+0], s60        // add lo to SRD
s_addc_u32 s[sgprSrdC+1], s[sgprSrdC+1], s61       // add hi to SRD
s_mul_hi_u32 s61, s62, s[sgprStrideD1J]            // Scale s62 by Stride
s_mul_i32 s60, s62, s[sgprStrideD1J]               // Scale s62 by Stride
s_lshl_b64 s[60:61], s[60:61], 2                   // scale by bpe
s_add_u32 s[sgprSrdD+0], s[sgprSrdD+0], s60        // add lo to SRD
s_addc_u32 s[sgprSrdD+1], s[sgprSrdD+1], s61       // add hi to SRD

s_mul_hi_u32 s61, s[sgprWorkGroup2], s[sgprStrideCK] // CScale s[sgprWorkGroup2] by Stride
s_mul_i32 s60, s[sgprWorkGroup2], s[sgprStrideCK]  // CScale s[sgprWorkGroup2] by Stride
s_lshl_b64 s[60:61], s[60:61], 2                   // scale by bpe
s_add_u32 s[sgprSrdC+0], s[sgprSrdC+0], s60        // add lo to SRD
s_addc_u32 s[sgprSrdC+1], s[sgprSrdC+1], s61       // add hi to SRD
s_mul_hi_u32 s61, s[sgprWorkGroup2], s[sgprStrideDK] // Scale s[sgprWorkGroup2] by Stride
s_mul_i32 s60, s[sgprWorkGroup2], s[sgprStrideDK]  // Scale s[sgprWorkGroup2] by Stride
s_lshl_b64 s[60:61], s[60:61], 2                   // scale by bpe
s_add_u32 s[sgprSrdD+0], s[sgprSrdD+0], s60        // add lo to SRD
s_addc_u32 s[sgprSrdD+1], s[sgprSrdD+1], s61       // add hi to SRD

// GSU Output Buffer offset: Free0 + (Free1-1)*StrideC1J + (Free2-1)*StrideCK * GSUIdx * bpe
s_mul_hi_u32 s11, s[sgprSizesFree+0], s[sgprGSUSumIdx] // Free0
s_mul_i32 s10, s[sgprSizesFree+0], s[sgprGSUSumIdx] // Free0
s_sub_u32 s59, s[sgprSizesFree+1], 1               // Free1
s_mul_i32 s59, s59, s[sgprGSUSumIdx]               // Free1
s_mul_hi_u32 s39, s59, s[sgprStrideC1J]            // Free1
s_mul_i32 s38, s59, s[sgprStrideC1J]               // Free1
s_add_u32 s10, s10, s38                            // Free1
s_addc_u32 s11, s11, s39                           // Free1
s_sub_u32 s59, s[sgprSizesFree+2], 1               // Free2
s_mul_i32 s59, s59, s[sgprGSUSumIdx]               // Free2
s_mul_hi_u32 s39, s59, s[sgprStrideCK]             // Free2
s_mul_i32 s38, s59, s[sgprStrideCK]                // Free2
s_add_u32 s10, s10, s38                            // Free2
s_addc_u32 s11, s11, s39                           // Free2
s_lshl_b64 s[10:11], s[10:11], 2                   // scale by bpe
s_add_u32 s[sgprSrdD+0], s[sgprSrdD+0], s10        // add lo GSU offset to SRD
s_addc_u32 s[sgprSrdD+1], s[sgprSrdD+1], s11       // add hi GSU offset to SRD


/* initC: remove C-tile 0-0 from pool */

/* initC: remove AB-tile 0-40 from pool */
v_accvgpr_write acc0, 0x0                          // initC
v_accvgpr_write acc1, 0x0                          // initC
v_accvgpr_write acc2, 0x0                          // initC
v_accvgpr_write acc3, 0x0                          // initC
v_accvgpr_write acc4, 0x0                          // initC
v_accvgpr_write acc5, 0x0                          // initC
v_accvgpr_write acc6, 0x0                          // initC
v_accvgpr_write acc7, 0x0                          // initC
v_accvgpr_write acc8, 0x0                          // initC
v_accvgpr_write acc9, 0x0                          // initC
v_accvgpr_write acc10, 0x0                         // initC
v_accvgpr_write acc11, 0x0                         // initC
v_accvgpr_write acc12, 0x0                         // initC
v_accvgpr_write acc13, 0x0                         // initC
v_accvgpr_write acc14, 0x0                         // initC
v_accvgpr_write acc15, 0x0                         // initC
v_accvgpr_write acc16, 0x0                         // initC
v_accvgpr_write acc17, 0x0                         // initC
v_accvgpr_write acc18, 0x0                         // initC
v_accvgpr_write acc19, 0x0                         // initC
v_accvgpr_write acc20, 0x0                         // initC
v_accvgpr_write acc21, 0x0                         // initC
v_accvgpr_write acc22, 0x0                         // initC
v_accvgpr_write acc23, 0x0                         // initC
v_accvgpr_write acc24, 0x0                         // initC
v_accvgpr_write acc25, 0x0                         // initC
v_accvgpr_write acc26, 0x0                         // initC
v_accvgpr_write acc27, 0x0                         // initC
v_accvgpr_write acc28, 0x0                         // initC
v_accvgpr_write acc29, 0x0                         // initC
v_accvgpr_write acc30, 0x0                         // initC
v_accvgpr_write acc31, 0x0                         // initC
v_accvgpr_write acc32, 0x0                         // initC
v_accvgpr_write acc33, 0x0                         // initC
v_accvgpr_write acc34, 0x0                         // initC
v_accvgpr_write acc35, 0x0                         // initC
v_accvgpr_write acc36, 0x0                         // initC
v_accvgpr_write acc37, 0x0                         // initC
v_accvgpr_write acc38, 0x0                         // initC
v_accvgpr_write acc39, 0x0                         // initC
v_accvgpr_write acc40, 0x0                         // initC
v_accvgpr_write acc41, 0x0                         // initC
v_accvgpr_write acc42, 0x0                         // initC
v_accvgpr_write acc43, 0x0                         // initC
v_accvgpr_write acc44, 0x0                         // initC
v_accvgpr_write acc45, 0x0                         // initC
v_accvgpr_write acc46, 0x0                         // initC
v_accvgpr_write acc47, 0x0                         // initC
v_accvgpr_write acc48, 0x0                         // initC
v_accvgpr_write acc49, 0x0                         // initC
v_accvgpr_write acc50, 0x0                         // initC
v_accvgpr_write acc51, 0x0                         // initC
v_accvgpr_write acc52, 0x0                         // initC
v_accvgpr_write acc53, 0x0                         // initC
v_accvgpr_write acc54, 0x0                         // initC
v_accvgpr_write acc55, 0x0                         // initC
v_accvgpr_write acc56, 0x0                         // initC
v_accvgpr_write acc57, 0x0                         // initC
v_accvgpr_write acc58, 0x0                         // initC
v_accvgpr_write acc59, 0x0                         // initC
v_accvgpr_write acc60, 0x0                         // initC
v_accvgpr_write acc61, 0x0                         // initC
v_accvgpr_write acc62, 0x0                         // initC
v_accvgpr_write acc63, 0x0                         // initC
v_accvgpr_write acc64, 0x0                         // initC
v_accvgpr_write acc65, 0x0                         // initC
v_accvgpr_write acc66, 0x0                         // initC
v_accvgpr_write acc67, 0x0                         // initC
v_accvgpr_write acc68, 0x0                         // initC
v_accvgpr_write acc69, 0x0                         // initC
v_accvgpr_write acc70, 0x0                         // initC
v_accvgpr_write acc71, 0x0                         // initC
v_accvgpr_write acc72, 0x0                         // initC
v_accvgpr_write acc73, 0x0                         // initC
v_accvgpr_write acc74, 0x0                         // initC
v_accvgpr_write acc75, 0x0                         // initC
v_accvgpr_write acc76, 0x0                         // initC
v_accvgpr_write acc77, 0x0                         // initC
v_accvgpr_write acc78, 0x0                         // initC
v_accvgpr_write acc79, 0x0                         // initC
v_accvgpr_write acc80, 0x0                         // initC
v_accvgpr_write acc81, 0x0                         // initC
v_accvgpr_write acc82, 0x0                         // initC
v_accvgpr_write acc83, 0x0                         // initC
v_accvgpr_write acc84, 0x0                         // initC
v_accvgpr_write acc85, 0x0                         // initC
v_accvgpr_write acc86, 0x0                         // initC
v_accvgpr_write acc87, 0x0                         // initC
v_accvgpr_write acc88, 0x0                         // initC
v_accvgpr_write acc89, 0x0                         // initC
v_accvgpr_write acc90, 0x0                         // initC
v_accvgpr_write acc91, 0x0                         // initC
v_accvgpr_write acc92, 0x0                         // initC
v_accvgpr_write acc93, 0x0                         // initC
v_accvgpr_write acc94, 0x0                         // initC
v_accvgpr_write acc95, 0x0                         // initC

s_cmp_eq_u32 s[sgprLoopCounterL], 0                // at last iteration?

/* after InitC, skip to end of prefetch last iter if numIter==0 */
s_cbranch_scc0 label_NoBranch_11                   // Only branch on scc1
s_getpc_B64 s[60:61]                               // addr of next instr
s_add_i32 s62, PrefetchGlobalLastIterEnd_5, 0x4    // target branch offset
s_add_u32 s60, s60, s62                            // add target branch offset
s_addc_u32 s61, s61, 0                             // add high and carry
s_setpc_b64 s[60:61]                               // branch to PrefetchGlobalLastIterEnd_5
label_NoBranch_11:

s_waitcnt vmcnt(0)                                 // lgkmcnt=-1 vmcnt=0 8wait for global read


/* local write a */
v_cvt_f32_f16 v[vgprG2Lpipe0], v[vgprG2LA+0]       // 
v_cmp_u_f32 s[sgprFp16AltNanCheck:sgprFp16AltNanCheck+1], v[vgprG2Lpipe0], v[vgprG2Lpipe0] // check NaN
v_add_u32 v[vgprFp16AltTmp], s[sgprFp16AltOffset], v[vgprG2Lpipe0] // 
v_cndmask_b32 v[vgprG2Lpipe0], v[vgprFp16AltTmp], v[vgprG2Lpipe0], s[sgprFp16AltNanCheck:sgprFp16AltNanCheck+1] // 
v_cvt_f32_f16 v[vgprG2Lpipe1], v[vgprG2LA+0], src0_sel:WORD_1 // 
v_cmp_u_f32 s[sgprFp16AltNanCheck:sgprFp16AltNanCheck+1], v[vgprG2Lpipe1], v[vgprG2Lpipe1] // check NaN
v_add_u32 v[vgprFp16AltTmp], s[sgprFp16AltOffset], v[vgprG2Lpipe1] // 
v_cndmask_b32 v[vgprG2Lpipe1], v[vgprFp16AltTmp], v[vgprG2Lpipe1], s[sgprFp16AltNanCheck:sgprFp16AltNanCheck+1] // 
v_pack_b32_f16 v[vgprG2LA+0], v[vgprG2Lpipe0], v[vgprG2Lpipe1], op_sel:[1,1,0] // 
v_cvt_f32_f16 v[vgprG2Lpipe0], v[vgprG2LA+1]       // 
v_cmp_u_f32 s[sgprFp16AltNanCheck:sgprFp16AltNanCheck+1], v[vgprG2Lpipe0], v[vgprG2Lpipe0] // check NaN
v_add_u32 v[vgprFp16AltTmp], s[sgprFp16AltOffset], v[vgprG2Lpipe0] // 
v_cndmask_b32 v[vgprG2Lpipe0], v[vgprFp16AltTmp], v[vgprG2Lpipe0], s[sgprFp16AltNanCheck:sgprFp16AltNanCheck+1] // 
v_cvt_f32_f16 v[vgprG2Lpipe1], v[vgprG2LA+1], src0_sel:WORD_1 // 
v_cmp_u_f32 s[sgprFp16AltNanCheck:sgprFp16AltNanCheck+1], v[vgprG2Lpipe1], v[vgprG2Lpipe1] // check NaN
v_add_u32 v[vgprFp16AltTmp], s[sgprFp16AltOffset], v[vgprG2Lpipe1] // 
v_cndmask_b32 v[vgprG2Lpipe1], v[vgprFp16AltTmp], v[vgprG2Lpipe1], s[sgprFp16AltNanCheck:sgprFp16AltNanCheck+1] // 
v_pack_b32_f16 v[vgprG2LA+1], v[vgprG2Lpipe0], v[vgprG2Lpipe1], op_sel:[1,1,0] // 
_ds_store_b64 v[vgprLocalWriteAddrA], v[vgprG2LA+0:vgprG2LA+0+1] offset:0 // lwoA_0_0_0_0 = (0*LSCA) + (0*LSPA)(*MT0I+PAD) = 0
v_cvt_f32_f16 v[vgprG2Lpipe0], v[vgprG2LA+2]       // 
v_cmp_u_f32 s[sgprFp16AltNanCheck:sgprFp16AltNanCheck+1], v[vgprG2Lpipe0], v[vgprG2Lpipe0] // check NaN
v_add_u32 v[vgprFp16AltTmp], s[sgprFp16AltOffset], v[vgprG2Lpipe0] // 
v_cndmask_b32 v[vgprG2Lpipe0], v[vgprFp16AltTmp], v[vgprG2Lpipe0], s[sgprFp16AltNanCheck:sgprFp16AltNanCheck+1] // 
v_cvt_f32_f16 v[vgprG2Lpipe1], v[vgprG2LA+2], src0_sel:WORD_1 // 
v_cmp_u_f32 s[sgprFp16AltNanCheck:sgprFp16AltNanCheck+1], v[vgprG2Lpipe1], v[vgprG2Lpipe1] // check NaN
v_add_u32 v[vgprFp16AltTmp], s[sgprFp16AltOffset], v[vgprG2Lpipe1] // 
v_cndmask_b32 v[vgprG2Lpipe1], v[vgprFp16AltTmp], v[vgprG2Lpipe1], s[sgprFp16AltNanCheck:sgprFp16AltNanCheck+1] // 
v_pack_b32_f16 v[vgprG2LA+2], v[vgprG2Lpipe0], v[vgprG2Lpipe1], op_sel:[1,1,0] // 
v_cvt_f32_f16 v[vgprG2Lpipe0], v[vgprG2LA+3]       // 
v_cmp_u_f32 s[sgprFp16AltNanCheck:sgprFp16AltNanCheck+1], v[vgprG2Lpipe0], v[vgprG2Lpipe0] // check NaN
v_add_u32 v[vgprFp16AltTmp], s[sgprFp16AltOffset], v[vgprG2Lpipe0] // 
v_cndmask_b32 v[vgprG2Lpipe0], v[vgprFp16AltTmp], v[vgprG2Lpipe0], s[sgprFp16AltNanCheck:sgprFp16AltNanCheck+1] // 
v_cvt_f32_f16 v[vgprG2Lpipe1], v[vgprG2LA+3], src0_sel:WORD_1 // 
v_cmp_u_f32 s[sgprFp16AltNanCheck:sgprFp16AltNanCheck+1], v[vgprG2Lpipe1], v[vgprG2Lpipe1] // check NaN
v_add_u32 v[vgprFp16AltTmp], s[sgprFp16AltOffset], v[vgprG2Lpipe1] // 
v_cndmask_b32 v[vgprG2Lpipe1], v[vgprFp16AltTmp], v[vgprG2Lpipe1], s[sgprFp16AltNanCheck:sgprFp16AltNanCheck+1] // 
v_pack_b32_f16 v[vgprG2LA+3], v[vgprG2Lpipe0], v[vgprG2Lpipe1], op_sel:[1,1,0] // 
_ds_store_b64 v[vgprLocalWriteAddrA], v[vgprG2LA+2:vgprG2LA+2+1] offset:2048 // lwoA_0_0_1_0 = (0*LSCA) + (1*LSPA)(*MT0I+PAD) = 2048
v_cvt_f32_f16 v[vgprG2Lpipe0], v[vgprG2LA+4]       // 
v_cmp_u_f32 s[sgprFp16AltNanCheck:sgprFp16AltNanCheck+1], v[vgprG2Lpipe0], v[vgprG2Lpipe0] // check NaN
v_add_u32 v[vgprFp16AltTmp], s[sgprFp16AltOffset], v[vgprG2Lpipe0] // 
v_cndmask_b32 v[vgprG2Lpipe0], v[vgprFp16AltTmp], v[vgprG2Lpipe0], s[sgprFp16AltNanCheck:sgprFp16AltNanCheck+1] // 
v_cvt_f32_f16 v[vgprG2Lpipe1], v[vgprG2LA+4], src0_sel:WORD_1 // 
v_cmp_u_f32 s[sgprFp16AltNanCheck:sgprFp16AltNanCheck+1], v[vgprG2Lpipe1], v[vgprG2Lpipe1] // check NaN
v_add_u32 v[vgprFp16AltTmp], s[sgprFp16AltOffset], v[vgprG2Lpipe1] // 
v_cndmask_b32 v[vgprG2Lpipe1], v[vgprFp16AltTmp], v[vgprG2Lpipe1], s[sgprFp16AltNanCheck:sgprFp16AltNanCheck+1] // 
v_pack_b32_f16 v[vgprG2LA+4], v[vgprG2Lpipe0], v[vgprG2Lpipe1], op_sel:[1,1,0] // 
v_cvt_f32_f16 v[vgprG2Lpipe0], v[vgprG2LA+5]       // 
v_cmp_u_f32 s[sgprFp16AltNanCheck:sgprFp16AltNanCheck+1], v[vgprG2Lpipe0], v[vgprG2Lpipe0] // check NaN
v_add_u32 v[vgprFp16AltTmp], s[sgprFp16AltOffset], v[vgprG2Lpipe0] // 
v_cndmask_b32 v[vgprG2Lpipe0], v[vgprFp16AltTmp], v[vgprG2Lpipe0], s[sgprFp16AltNanCheck:sgprFp16AltNanCheck+1] // 
v_cvt_f32_f16 v[vgprG2Lpipe1], v[vgprG2LA+5], src0_sel:WORD_1 // 
v_cmp_u_f32 s[sgprFp16AltNanCheck:sgprFp16AltNanCheck+1], v[vgprG2Lpipe1], v[vgprG2Lpipe1] // check NaN
v_add_u32 v[vgprFp16AltTmp], s[sgprFp16AltOffset], v[vgprG2Lpipe1] // 
v_cndmask_b32 v[vgprG2Lpipe1], v[vgprFp16AltTmp], v[vgprG2Lpipe1], s[sgprFp16AltNanCheck:sgprFp16AltNanCheck+1] // 
v_pack_b32_f16 v[vgprG2LA+5], v[vgprG2Lpipe0], v[vgprG2Lpipe1], op_sel:[1,1,0] // 
_ds_store_b64 v[vgprLocalWriteAddrA], v[vgprG2LA+4:vgprG2LA+4+1] offset:4096 // lwoA_0_0_2_0 = (0*LSCA) + (2*LSPA)(*MT0I+PAD) = 4096
v_cvt_f32_f16 v[vgprG2Lpipe0], v[vgprG2LA+6]       // 
v_cmp_u_f32 s[sgprFp16AltNanCheck:sgprFp16AltNanCheck+1], v[vgprG2Lpipe0], v[vgprG2Lpipe0] // check NaN
v_add_u32 v[vgprFp16AltTmp], s[sgprFp16AltOffset], v[vgprG2Lpipe0] // 
v_cndmask_b32 v[vgprG2Lpipe0], v[vgprFp16AltTmp], v[vgprG2Lpipe0], s[sgprFp16AltNanCheck:sgprFp16AltNanCheck+1] // 
v_cvt_f32_f16 v[vgprG2Lpipe1], v[vgprG2LA+6], src0_sel:WORD_1 // 
v_cmp_u_f32 s[sgprFp16AltNanCheck:sgprFp16AltNanCheck+1], v[vgprG2Lpipe1], v[vgprG2Lpipe1] // check NaN
v_add_u32 v[vgprFp16AltTmp], s[sgprFp16AltOffset], v[vgprG2Lpipe1] // 
v_cndmask_b32 v[vgprG2Lpipe1], v[vgprFp16AltTmp], v[vgprG2Lpipe1], s[sgprFp16AltNanCheck:sgprFp16AltNanCheck+1] // 
v_pack_b32_f16 v[vgprG2LA+6], v[vgprG2Lpipe0], v[vgprG2Lpipe1], op_sel:[1,1,0] // 
v_cvt_f32_f16 v[vgprG2Lpipe0], v[vgprG2LA+7]       // 
v_cmp_u_f32 s[sgprFp16AltNanCheck:sgprFp16AltNanCheck+1], v[vgprG2Lpipe0], v[vgprG2Lpipe0] // check NaN
v_add_u32 v[vgprFp16AltTmp], s[sgprFp16AltOffset], v[vgprG2Lpipe0] // 
v_cndmask_b32 v[vgprG2Lpipe0], v[vgprFp16AltTmp], v[vgprG2Lpipe0], s[sgprFp16AltNanCheck:sgprFp16AltNanCheck+1] // 
v_cvt_f32_f16 v[vgprG2Lpipe1], v[vgprG2LA+7], src0_sel:WORD_1 // 
v_cmp_u_f32 s[sgprFp16AltNanCheck:sgprFp16AltNanCheck+1], v[vgprG2Lpipe1], v[vgprG2Lpipe1] // check NaN
v_add_u32 v[vgprFp16AltTmp], s[sgprFp16AltOffset], v[vgprG2Lpipe1] // 
v_cndmask_b32 v[vgprG2Lpipe1], v[vgprFp16AltTmp], v[vgprG2Lpipe1], s[sgprFp16AltNanCheck:sgprFp16AltNanCheck+1] // 
v_pack_b32_f16 v[vgprG2LA+7], v[vgprG2Lpipe0], v[vgprG2Lpipe1], op_sel:[1,1,0] // 
_ds_store_b64 v[vgprLocalWriteAddrA], v[vgprG2LA+6:vgprG2LA+6+1] offset:6144 // lwoA_0_0_3_0 = (0*LSCA) + (3*LSPA)(*MT0I+PAD) = 6144

/* local write b */
v_cvt_f32_f16 v[vgprG2Lpipe0], v[vgprG2LB+0]       // 
v_cmp_u_f32 s[sgprFp16AltNanCheck:sgprFp16AltNanCheck+1], v[vgprG2Lpipe0], v[vgprG2Lpipe0] // check NaN
v_add_u32 v[vgprFp16AltTmp], s[sgprFp16AltOffset], v[vgprG2Lpipe0] // 
v_cndmask_b32 v[vgprG2Lpipe0], v[vgprFp16AltTmp], v[vgprG2Lpipe0], s[sgprFp16AltNanCheck:sgprFp16AltNanCheck+1] // 
v_cvt_f32_f16 v[vgprG2Lpipe1], v[vgprG2LB+0], src0_sel:WORD_1 // 
v_cmp_u_f32 s[sgprFp16AltNanCheck:sgprFp16AltNanCheck+1], v[vgprG2Lpipe1], v[vgprG2Lpipe1] // check NaN
v_add_u32 v[vgprFp16AltTmp], s[sgprFp16AltOffset], v[vgprG2Lpipe1] // 
v_cndmask_b32 v[vgprG2Lpipe1], v[vgprFp16AltTmp], v[vgprG2Lpipe1], s[sgprFp16AltNanCheck:sgprFp16AltNanCheck+1] // 
v_pack_b32_f16 v[vgprG2LB+0], v[vgprG2Lpipe0], v[vgprG2Lpipe1], op_sel:[1,1,0] // 
v_cvt_f32_f16 v[vgprG2Lpipe0], v[vgprG2LB+1]       // 
v_cmp_u_f32 s[sgprFp16AltNanCheck:sgprFp16AltNanCheck+1], v[vgprG2Lpipe0], v[vgprG2Lpipe0] // check NaN
v_add_u32 v[vgprFp16AltTmp], s[sgprFp16AltOffset], v[vgprG2Lpipe0] // 
v_cndmask_b32 v[vgprG2Lpipe0], v[vgprFp16AltTmp], v[vgprG2Lpipe0], s[sgprFp16AltNanCheck:sgprFp16AltNanCheck+1] // 
v_cvt_f32_f16 v[vgprG2Lpipe1], v[vgprG2LB+1], src0_sel:WORD_1 // 
v_cmp_u_f32 s[sgprFp16AltNanCheck:sgprFp16AltNanCheck+1], v[vgprG2Lpipe1], v[vgprG2Lpipe1] // check NaN
v_add_u32 v[vgprFp16AltTmp], s[sgprFp16AltOffset], v[vgprG2Lpipe1] // 
v_cndmask_b32 v[vgprG2Lpipe1], v[vgprFp16AltTmp], v[vgprG2Lpipe1], s[sgprFp16AltNanCheck:sgprFp16AltNanCheck+1] // 
v_pack_b32_f16 v[vgprG2LB+1], v[vgprG2Lpipe0], v[vgprG2Lpipe1], op_sel:[1,1,0] // 
_ds_store_b64 v[vgprLocalWriteAddrB], v[vgprG2LB+0:vgprG2LB+0+1] offset:0 // lwoB_0_0_0_0 = (0*LSCB) + (0*LSPB)(*MT1J+PAD) = 0
v_cvt_f32_f16 v[vgprG2Lpipe0], v[vgprG2LB+2]       // 
v_cmp_u_f32 s[sgprFp16AltNanCheck:sgprFp16AltNanCheck+1], v[vgprG2Lpipe0], v[vgprG2Lpipe0] // check NaN
v_add_u32 v[vgprFp16AltTmp], s[sgprFp16AltOffset], v[vgprG2Lpipe0] // 
v_cndmask_b32 v[vgprG2Lpipe0], v[vgprFp16AltTmp], v[vgprG2Lpipe0], s[sgprFp16AltNanCheck:sgprFp16AltNanCheck+1] // 
v_cvt_f32_f16 v[vgprG2Lpipe1], v[vgprG2LB+2], src0_sel:WORD_1 // 
v_cmp_u_f32 s[sgprFp16AltNanCheck:sgprFp16AltNanCheck+1], v[vgprG2Lpipe1], v[vgprG2Lpipe1] // check NaN
v_add_u32 v[vgprFp16AltTmp], s[sgprFp16AltOffset], v[vgprG2Lpipe1] // 
v_cndmask_b32 v[vgprG2Lpipe1], v[vgprFp16AltTmp], v[vgprG2Lpipe1], s[sgprFp16AltNanCheck:sgprFp16AltNanCheck+1] // 
v_pack_b32_f16 v[vgprG2LB+2], v[vgprG2Lpipe0], v[vgprG2Lpipe1], op_sel:[1,1,0] // 
v_cvt_f32_f16 v[vgprG2Lpipe0], v[vgprG2LB+3]       // 
v_cmp_u_f32 s[sgprFp16AltNanCheck:sgprFp16AltNanCheck+1], v[vgprG2Lpipe0], v[vgprG2Lpipe0] // check NaN
v_add_u32 v[vgprFp16AltTmp], s[sgprFp16AltOffset], v[vgprG2Lpipe0] // 
v_cndmask_b32 v[vgprG2Lpipe0], v[vgprFp16AltTmp], v[vgprG2Lpipe0], s[sgprFp16AltNanCheck:sgprFp16AltNanCheck+1] // 
v_cvt_f32_f16 v[vgprG2Lpipe1], v[vgprG2LB+3], src0_sel:WORD_1 // 
v_cmp_u_f32 s[sgprFp16AltNanCheck:sgprFp16AltNanCheck+1], v[vgprG2Lpipe1], v[vgprG2Lpipe1] // check NaN
v_add_u32 v[vgprFp16AltTmp], s[sgprFp16AltOffset], v[vgprG2Lpipe1] // 
v_cndmask_b32 v[vgprG2Lpipe1], v[vgprFp16AltTmp], v[vgprG2Lpipe1], s[sgprFp16AltNanCheck:sgprFp16AltNanCheck+1] // 
v_pack_b32_f16 v[vgprG2LB+3], v[vgprG2Lpipe0], v[vgprG2Lpipe1], op_sel:[1,1,0] // 
_ds_store_b64 v[vgprLocalWriteAddrB], v[vgprG2LB+2:vgprG2LB+2+1] offset:128 // lwoB_1_0_0_0 = (1*LSCB) + (0*LSPB)(*MT1J+PAD) = 128
v_cvt_f32_f16 v[vgprG2Lpipe0], v[vgprG2LB+4]       // 
v_cmp_u_f32 s[sgprFp16AltNanCheck:sgprFp16AltNanCheck+1], v[vgprG2Lpipe0], v[vgprG2Lpipe0] // check NaN
v_add_u32 v[vgprFp16AltTmp], s[sgprFp16AltOffset], v[vgprG2Lpipe0] // 
v_cndmask_b32 v[vgprG2Lpipe0], v[vgprFp16AltTmp], v[vgprG2Lpipe0], s[sgprFp16AltNanCheck:sgprFp16AltNanCheck+1] // 
v_cvt_f32_f16 v[vgprG2Lpipe1], v[vgprG2LB+4], src0_sel:WORD_1 // 
v_cmp_u_f32 s[sgprFp16AltNanCheck:sgprFp16AltNanCheck+1], v[vgprG2Lpipe1], v[vgprG2Lpipe1] // check NaN
v_add_u32 v[vgprFp16AltTmp], s[sgprFp16AltOffset], v[vgprG2Lpipe1] // 
v_cndmask_b32 v[vgprG2Lpipe1], v[vgprFp16AltTmp], v[vgprG2Lpipe1], s[sgprFp16AltNanCheck:sgprFp16AltNanCheck+1] // 
v_pack_b32_f16 v[vgprG2LB+4], v[vgprG2Lpipe0], v[vgprG2Lpipe1], op_sel:[1,1,0] // 
v_cvt_f32_f16 v[vgprG2Lpipe0], v[vgprG2LB+5]       // 
v_cmp_u_f32 s[sgprFp16AltNanCheck:sgprFp16AltNanCheck+1], v[vgprG2Lpipe0], v[vgprG2Lpipe0] // check NaN
v_add_u32 v[vgprFp16AltTmp], s[sgprFp16AltOffset], v[vgprG2Lpipe0] // 
v_cndmask_b32 v[vgprG2Lpipe0], v[vgprFp16AltTmp], v[vgprG2Lpipe0], s[sgprFp16AltNanCheck:sgprFp16AltNanCheck+1] // 
v_cvt_f32_f16 v[vgprG2Lpipe1], v[vgprG2LB+5], src0_sel:WORD_1 // 
v_cmp_u_f32 s[sgprFp16AltNanCheck:sgprFp16AltNanCheck+1], v[vgprG2Lpipe1], v[vgprG2Lpipe1] // check NaN
v_add_u32 v[vgprFp16AltTmp], s[sgprFp16AltOffset], v[vgprG2Lpipe1] // 
v_cndmask_b32 v[vgprG2Lpipe1], v[vgprFp16AltTmp], v[vgprG2Lpipe1], s[sgprFp16AltNanCheck:sgprFp16AltNanCheck+1] // 
v_pack_b32_f16 v[vgprG2LB+5], v[vgprG2Lpipe0], v[vgprG2Lpipe1], op_sel:[1,1,0] // 
_ds_store_b64 v[vgprLocalWriteAddrB], v[vgprG2LB+4:vgprG2LB+4+1] offset:256 // lwoB_2_0_0_0 = (2*LSCB) + (0*LSPB)(*MT1J+PAD) = 256
v_cvt_f32_f16 v[vgprG2Lpipe0], v[vgprG2LB+6]       // 
v_cmp_u_f32 s[sgprFp16AltNanCheck:sgprFp16AltNanCheck+1], v[vgprG2Lpipe0], v[vgprG2Lpipe0] // check NaN
v_add_u32 v[vgprFp16AltTmp], s[sgprFp16AltOffset], v[vgprG2Lpipe0] // 
v_cndmask_b32 v[vgprG2Lpipe0], v[vgprFp16AltTmp], v[vgprG2Lpipe0], s[sgprFp16AltNanCheck:sgprFp16AltNanCheck+1] // 
v_cvt_f32_f16 v[vgprG2Lpipe1], v[vgprG2LB+6], src0_sel:WORD_1 // 
v_cmp_u_f32 s[sgprFp16AltNanCheck:sgprFp16AltNanCheck+1], v[vgprG2Lpipe1], v[vgprG2Lpipe1] // check NaN
v_add_u32 v[vgprFp16AltTmp], s[sgprFp16AltOffset], v[vgprG2Lpipe1] // 
v_cndmask_b32 v[vgprG2Lpipe1], v[vgprFp16AltTmp], v[vgprG2Lpipe1], s[sgprFp16AltNanCheck:sgprFp16AltNanCheck+1] // 
v_pack_b32_f16 v[vgprG2LB+6], v[vgprG2Lpipe0], v[vgprG2Lpipe1], op_sel:[1,1,0] // 
v_cvt_f32_f16 v[vgprG2Lpipe0], v[vgprG2LB+7]       // 
v_cmp_u_f32 s[sgprFp16AltNanCheck:sgprFp16AltNanCheck+1], v[vgprG2Lpipe0], v[vgprG2Lpipe0] // check NaN
v_add_u32 v[vgprFp16AltTmp], s[sgprFp16AltOffset], v[vgprG2Lpipe0] // 
v_cndmask_b32 v[vgprG2Lpipe0], v[vgprFp16AltTmp], v[vgprG2Lpipe0], s[sgprFp16AltNanCheck:sgprFp16AltNanCheck+1] // 
v_cvt_f32_f16 v[vgprG2Lpipe1], v[vgprG2LB+7], src0_sel:WORD_1 // 
v_cmp_u_f32 s[sgprFp16AltNanCheck:sgprFp16AltNanCheck+1], v[vgprG2Lpipe1], v[vgprG2Lpipe1] // check NaN
v_add_u32 v[vgprFp16AltTmp], s[sgprFp16AltOffset], v[vgprG2Lpipe1] // 
v_cndmask_b32 v[vgprG2Lpipe1], v[vgprFp16AltTmp], v[vgprG2Lpipe1], s[sgprFp16AltNanCheck:sgprFp16AltNanCheck+1] // 
v_pack_b32_f16 v[vgprG2LB+7], v[vgprG2Lpipe0], v[vgprG2Lpipe1], op_sel:[1,1,0] // 
_ds_store_b64 v[vgprLocalWriteAddrB], v[vgprG2LB+6:vgprG2LB+6+1] offset:6144 // lwoB_0_0_1_0 = (0*LSCB) + (1*LSPB)(*MT1J+PAD) = 6144
v_cvt_f32_f16 v[vgprG2Lpipe0], v[vgprG2LB+8]       // 
v_cmp_u_f32 s[sgprFp16AltNanCheck:sgprFp16AltNanCheck+1], v[vgprG2Lpipe0], v[vgprG2Lpipe0] // check NaN
v_add_u32 v[vgprFp16AltTmp], s[sgprFp16AltOffset], v[vgprG2Lpipe0] // 
v_cndmask_b32 v[vgprG2Lpipe0], v[vgprFp16AltTmp], v[vgprG2Lpipe0], s[sgprFp16AltNanCheck:sgprFp16AltNanCheck+1] // 
v_cvt_f32_f16 v[vgprG2Lpipe1], v[vgprG2LB+8], src0_sel:WORD_1 // 
v_cmp_u_f32 s[sgprFp16AltNanCheck:sgprFp16AltNanCheck+1], v[vgprG2Lpipe1], v[vgprG2Lpipe1] // check NaN
v_add_u32 v[vgprFp16AltTmp], s[sgprFp16AltOffset], v[vgprG2Lpipe1] // 
v_cndmask_b32 v[vgprG2Lpipe1], v[vgprFp16AltTmp], v[vgprG2Lpipe1], s[sgprFp16AltNanCheck:sgprFp16AltNanCheck+1] // 
v_pack_b32_f16 v[vgprG2LB+8], v[vgprG2Lpipe0], v[vgprG2Lpipe1], op_sel:[1,1,0] // 
v_cvt_f32_f16 v[vgprG2Lpipe0], v[vgprG2LB+9]       // 
v_cmp_u_f32 s[sgprFp16AltNanCheck:sgprFp16AltNanCheck+1], v[vgprG2Lpipe0], v[vgprG2Lpipe0] // check NaN
v_add_u32 v[vgprFp16AltTmp], s[sgprFp16AltOffset], v[vgprG2Lpipe0] // 
v_cndmask_b32 v[vgprG2Lpipe0], v[vgprFp16AltTmp], v[vgprG2Lpipe0], s[sgprFp16AltNanCheck:sgprFp16AltNanCheck+1] // 
v_cvt_f32_f16 v[vgprG2Lpipe1], v[vgprG2LB+9], src0_sel:WORD_1 // 
v_cmp_u_f32 s[sgprFp16AltNanCheck:sgprFp16AltNanCheck+1], v[vgprG2Lpipe1], v[vgprG2Lpipe1] // check NaN
v_add_u32 v[vgprFp16AltTmp], s[sgprFp16AltOffset], v[vgprG2Lpipe1] // 
v_cndmask_b32 v[vgprG2Lpipe1], v[vgprFp16AltTmp], v[vgprG2Lpipe1], s[sgprFp16AltNanCheck:sgprFp16AltNanCheck+1] // 
v_pack_b32_f16 v[vgprG2LB+9], v[vgprG2Lpipe0], v[vgprG2Lpipe1], op_sel:[1,1,0] // 
_ds_store_b64 v[vgprLocalWriteAddrB], v[vgprG2LB+8:vgprG2LB+8+1] offset:6272 // lwoB_1_0_1_0 = (1*LSCB) + (1*LSPB)(*MT1J+PAD) = 6272
v_cvt_f32_f16 v[vgprG2Lpipe0], v[vgprG2LB+10]      // 
v_cmp_u_f32 s[sgprFp16AltNanCheck:sgprFp16AltNanCheck+1], v[vgprG2Lpipe0], v[vgprG2Lpipe0] // check NaN
v_add_u32 v[vgprFp16AltTmp], s[sgprFp16AltOffset], v[vgprG2Lpipe0] // 
v_cndmask_b32 v[vgprG2Lpipe0], v[vgprFp16AltTmp], v[vgprG2Lpipe0], s[sgprFp16AltNanCheck:sgprFp16AltNanCheck+1] // 
v_cvt_f32_f16 v[vgprG2Lpipe1], v[vgprG2LB+10], src0_sel:WORD_1 // 
v_cmp_u_f32 s[sgprFp16AltNanCheck:sgprFp16AltNanCheck+1], v[vgprG2Lpipe1], v[vgprG2Lpipe1] // check NaN
v_add_u32 v[vgprFp16AltTmp], s[sgprFp16AltOffset], v[vgprG2Lpipe1] // 
v_cndmask_b32 v[vgprG2Lpipe1], v[vgprFp16AltTmp], v[vgprG2Lpipe1], s[sgprFp16AltNanCheck:sgprFp16AltNanCheck+1] // 
v_pack_b32_f16 v[vgprG2LB+10], v[vgprG2Lpipe0], v[vgprG2Lpipe1], op_sel:[1,1,0] // 
v_cvt_f32_f16 v[vgprG2Lpipe0], v[vgprG2LB+11]      // 
v_cmp_u_f32 s[sgprFp16AltNanCheck:sgprFp16AltNanCheck+1], v[vgprG2Lpipe0], v[vgprG2Lpipe0] // check NaN
v_add_u32 v[vgprFp16AltTmp], s[sgprFp16AltOffset], v[vgprG2Lpipe0] // 
v_cndmask_b32 v[vgprG2Lpipe0], v[vgprFp16AltTmp], v[vgprG2Lpipe0], s[sgprFp16AltNanCheck:sgprFp16AltNanCheck+1] // 
v_cvt_f32_f16 v[vgprG2Lpipe1], v[vgprG2LB+11], src0_sel:WORD_1 // 
v_cmp_u_f32 s[sgprFp16AltNanCheck:sgprFp16AltNanCheck+1], v[vgprG2Lpipe1], v[vgprG2Lpipe1] // check NaN
v_add_u32 v[vgprFp16AltTmp], s[sgprFp16AltOffset], v[vgprG2Lpipe1] // 
v_cndmask_b32 v[vgprG2Lpipe1], v[vgprFp16AltTmp], v[vgprG2Lpipe1], s[sgprFp16AltNanCheck:sgprFp16AltNanCheck+1] // 
v_pack_b32_f16 v[vgprG2LB+11], v[vgprG2Lpipe0], v[vgprG2Lpipe1], op_sel:[1,1,0] // 
_ds_store_b64 v[vgprLocalWriteAddrB], v[vgprG2LB+10:vgprG2LB+10+1] offset:6400 // lwoB_2_0_1_0 = (2*LSCB) + (1*LSPB)(*MT1J+PAD) = 6400


/* local write swap a */

v_xor_b32 v[vgprLocalWriteAddrA+0], 0x8000, v[vgprLocalWriteAddrA+0] // swap Red Blk


/* local write swap b */

v_xor_b32 v[vgprLocalWriteAddrB+0], 0x8000, v[vgprLocalWriteAddrB+0] // swap Red Blk


	;; [unrolled: 1-line block ×3, first 2 shown]
s_cmp_eq_u32 s[sgprLoopCounterL] 0x1               // PGR=2 but only 1 loop
s_cbranch_scc1 label_0012                          // PGR=2 but only 1 loop


_buffer_load_b64 v[vgprG2LA+0:vgprG2LA+0+1], v[vgprGlobalReadOffsetA+0], s[sgprSrdA:sgprSrdA+3], 0, offen offset:0 // G -> Reg 0_0_0_0
_buffer_load_b64 v[vgprG2LA+2:vgprG2LA+2+1], v[vgprGlobalReadOffsetA+1], s[sgprSrdA:sgprSrdA+3], 0, offen offset:0 // G -> Reg 0_0_1_0
_buffer_load_b64 v[vgprG2LA+4:vgprG2LA+4+1], v[vgprGlobalReadOffsetA+2], s[sgprSrdA:sgprSrdA+3], 0, offen offset:0 // G -> Reg 0_0_2_0
_buffer_load_b64 v[vgprG2LA+6:vgprG2LA+6+1], v[vgprGlobalReadOffsetA+3], s[sgprSrdA:sgprSrdA+3], 0, offen offset:0 // G -> Reg 0_0_3_0


_buffer_load_b64 v[vgprG2LB+0:vgprG2LB+0+1], v[vgprGlobalReadOffsetB+0], s[sgprSrdB:sgprSrdB+3], 0, offen offset:0 // G -> Reg 0_0_0_0
_buffer_load_b64 v[vgprG2LB+2:vgprG2LB+2+1], v[vgprGlobalReadOffsetB+1], s[sgprSrdB:sgprSrdB+3], 0, offen offset:0 // G -> Reg 1_0_0_0
_buffer_load_b64 v[vgprG2LB+4:vgprG2LB+4+1], v[vgprGlobalReadOffsetB+2], s[sgprSrdB:sgprSrdB+3], 0, offen offset:0 // G -> Reg 2_0_0_0
_buffer_load_b64 v[vgprG2LB+6:vgprG2LB+6+1], v[vgprGlobalReadOffsetB+3], s[sgprSrdB:sgprSrdB+3], 0, offen offset:0 // G -> Reg 0_0_1_0
_buffer_load_b64 v[vgprG2LB+8:vgprG2LB+8+1], v[vgprGlobalReadOffsetB+4], s[sgprSrdB:sgprSrdB+3], 0, offen offset:0 // G -> Reg 1_0_1_0
_buffer_load_b64 v[vgprG2LB+10:vgprG2LB+10+1], v[vgprGlobalReadOffsetB+5], s[sgprSrdB:sgprSrdB+3], 0, offen offset:0 // G -> Reg 2_0_1_0

label_0012:                                        // 

s_waitcnt lgkmcnt(0)                               // lgkmcnt=0 vmcnt=-10prefetch wait for local write

// Skip force waitcnt0
s_barrier //


/* local read prefetch a */

_ds_load_u16 v[vgprValuA_X0_I0+0], v[vgprLocalReadAddrA] offset:0 // L -> Reg lro=0 swapByteOffset=0 ti=64 vIdx=0 rIdx=0 oIdx=0 buffer=0 iui=0
_ds_load_u16_d16_hi v78, v[vgprLocalReadAddrA] offset:256 // L -> Reg lro=0 swapByteOffset=0 ti=64 vIdx=0 rIdx=1 oIdx=0 buffer=0 iui=0
_ds_load_u16 v[vgprValuA_X0_I0+1], v[vgprLocalReadAddrA] offset:512 // L -> Reg lro=0 swapByteOffset=0 ti=64 vIdx=0 rIdx=2 oIdx=0 buffer=0 iui=0
_ds_load_u16_d16_hi v79, v[vgprLocalReadAddrA] offset:768 // L -> Reg lro=0 swapByteOffset=0 ti=64 vIdx=0 rIdx=3 oIdx=0 buffer=0 iui=0
	;; [unrolled: 2-line block ×4, first 2 shown]


/* local read prefetch b */

_ds_load_u16 v[vgprValuB_X0_I0+0], v[vgprLocalReadAddrB] offset:0 // L -> Reg lro=0 swapByteOffset=0 ti=64 vIdx=0 rIdx=0 oIdx=0 buffer=0 iui=0
_ds_load_u16_d16_hi v82, v[vgprLocalReadAddrB] offset:384 // L -> Reg lro=0 swapByteOffset=0 ti=64 vIdx=0 rIdx=1 oIdx=0 buffer=0 iui=0
_ds_load_u16 v[vgprValuB_X0_I0+1], v[vgprLocalReadAddrB] offset:768 // L -> Reg lro=0 swapByteOffset=0 ti=64 vIdx=0 rIdx=2 oIdx=0 buffer=0 iui=0
_ds_load_u16_d16_hi v83, v[vgprLocalReadAddrB] offset:1152 // L -> Reg lro=0 swapByteOffset=0 ti=64 vIdx=0 rIdx=3 oIdx=0 buffer=0 iui=0
	;; [unrolled: 2-line block ×6, first 2 shown]


/* local read inc a */

/* N/A, lro->1024 */
/* self.localReadDoCntA 1 self.localReadDoCntB 1 */


/* local read inc b */

/* N/A, lro->1536 */
/* self.localReadDoCntA 1 self.localReadDoCntB 1 */


	;; [unrolled: 1-line block ×3, first 2 shown]
/******************************************/
/* Unrolled Loop(s) - Begin               */
/******************************************/

openLoopL_13:
s_cmp_eq_u32 s[sgprLoopCounterL], 0x1              // LoopCounterL < EndCounter
s_cbranch_scc1 label_0014                          // PGR=2 but only 1 loop, toPGR1
s_cmp_le_u32 s[sgprLoopCounterL], 0x2              // LoopCounterL < EndCounter
s_cbranch_scc1 LoopEndL_2                          // do not enter LoopL
LoopBeginL_1:


/******************************************/
/* Unrolled Loop 1/1 - Begin              */
/******************************************/

label_0015: // LoopCopy1 


/* Begin Each Unroll: Check VGPR.checkin for INT8 LW */



/* iter 0 */

/*  grEndMfmaIndex:2, lwStartMfmaIndex:4, lwEndMfmaIndex:18  */
/*  numMfmaForLR:4, barrierMfmaIndex:19, LocalWritePerMfma:0.670 */
/*  mfmaIndex:0  */
s_waitcnt lgkmcnt(0)                               // lgkmcnt=0 vmcnt=-1wait for prior local read local write old=0, new=0 newLW=0 newLR=0
/* pack scheduling: packAIdx:2, packBIdx:2 */
v_or_b32 v[vgprValuA_X0_I0+0], v[vgprValuA_X0_I0+0], v78 // pack two half Vgpr to one Vgpr
v_or_b32 v[vgprValuA_X0_I0+1], v[vgprValuA_X0_I0+1], v79 // pack two half Vgpr to one Vgpr
v_or_b32 v[vgprValuB_X0_I0+0], v[vgprValuB_X0_I0+0], v82 // pack two half Vgpr to one Vgpr
v_or_b32 v[vgprValuB_X0_I0+1], v[vgprValuB_X0_I0+1], v83 // pack two half Vgpr to one Vgpr
v_or_b32 v[vgprValuA_X0_I0+2], v[vgprValuA_X0_I0+2], v80 // pack two half Vgpr to one Vgpr
v_or_b32 v[vgprValuA_X0_I0+3], v[vgprValuA_X0_I0+3], v81 // pack two half Vgpr to one Vgpr
v_mfma_f32_32x32x8bf16_1k a[0+0:15+0], v[vgprValuB_X0_I0+0+0+0:vgprValuB_X0_I0+0+0+0+1], v[vgprValuA_X0_I0+0+0+0:vgprValuA_X0_I0+0+0+0+1], a[0:15]
/*  mfmaIndex:1  */
_ds_load_u16 v[vgprValuA_X1_I0+0], v[vgprLocalReadAddrA] offset:2048 // L -> Reg lro=1024 swapByteOffset=0 ti=64 vIdx=0 rIdx=0 oIdx=0 buffer=1 iui=0
_ds_load_u16_d16_hi v88, v[vgprLocalReadAddrA] offset:2304 // L -> Reg lro=1024 swapByteOffset=0 ti=64 vIdx=0 rIdx=1 oIdx=0 buffer=1 iui=0
_ds_load_u16 v[vgprValuA_X1_I0+1], v[vgprLocalReadAddrA] offset:2560 // L -> Reg lro=1024 swapByteOffset=0 ti=64 vIdx=0 rIdx=2 oIdx=0 buffer=1 iui=0
_ds_load_u16_d16_hi v89, v[vgprLocalReadAddrA] offset:2816 // L -> Reg lro=1024 swapByteOffset=0 ti=64 vIdx=0 rIdx=3 oIdx=0 buffer=1 iui=0
_ds_load_u16 v[vgprValuB_X1_I0+0], v[vgprLocalReadAddrB] offset:3072 // L -> Reg lro=1536 swapByteOffset=0 ti=64 vIdx=0 rIdx=0 oIdx=0 buffer=1 iui=0
_ds_load_u16_d16_hi v92, v[vgprLocalReadAddrB] offset:3456 // L -> Reg lro=1536 swapByteOffset=0 ti=64 vIdx=0 rIdx=1 oIdx=0 buffer=1 iui=0

/* global read inc A loopL */
s_add_u32 s[sgprSrdA+0], s[sgprSrdA+0], s[sgprGlobalReadIncsA+0] // gra SRD += inc(lower)
s_addc_u32  s[sgprSrdA+1], s[sgprSrdA+1], 0        // gra SRD += inc(upper)
s_sub_u32 s[sgprShadowLimitA+0], s[sgprShadowLimitA+0], s[sgprGlobalReadIncsA+0] // limit -= inc)
s_subb_u32 s[sgprShadowLimitA+1], s[sgprShadowLimitA+1], 0 // limit -= inc)
s_cmp_eq_u32 s[sgprShadowLimitA+1], 0              // are we within 2^32?
s_cmov_b32 s[sgprSrdA+2], s[sgprShadowLimitA+0]    // Move shadow to real if we are within 2^32

/* global read inc B loopL */
s_add_u32 s[sgprSrdB+0], s[sgprSrdB+0], s[sgprGlobalReadIncsB+0] // gra SRD += inc(lower)
/* pack scheduling: packAIdx:4, packBIdx:2 */
v_or_b32 v[vgprValuB_X0_I0+2], v[vgprValuB_X0_I0+2], v84 // pack two half Vgpr to one Vgpr
v_or_b32 v[vgprValuB_X0_I0+3], v[vgprValuB_X0_I0+3], v85 // pack two half Vgpr to one Vgpr
	;; [unrolled: 1-line block ×4, first 2 shown]
v_mfma_f32_32x32x8bf16_1k a[16+0:31+0], v[vgprValuB_X0_I0+0+0+0:vgprValuB_X0_I0+0+0+0+1], v[vgprValuA_X0_I0+2+0+0:vgprValuA_X0_I0+2+0+0+1], a[16:31]
/*  mfmaIndex:2  */
_ds_load_u16 v[vgprValuB_X1_I0+1], v[vgprLocalReadAddrB] offset:3840 // L -> Reg lro=1536 swapByteOffset=0 ti=64 vIdx=0 rIdx=2 oIdx=0 buffer=1 iui=0
_ds_load_u16_d16_hi v93, v[vgprLocalReadAddrB] offset:4224 // L -> Reg lro=1536 swapByteOffset=0 ti=64 vIdx=0 rIdx=3 oIdx=0 buffer=1 iui=0
_ds_load_u16 v[vgprValuA_X1_I0+2], v[vgprLocalReadAddrA] offset:2176 // L -> Reg lro=1024 swapByteOffset=0 ti=64 vIdx=1 rIdx=0 oIdx=0 buffer=1 iui=0
_ds_load_u16_d16_hi v90, v[vgprLocalReadAddrA] offset:2432 // L -> Reg lro=1024 swapByteOffset=0 ti=64 vIdx=1 rIdx=1 oIdx=0 buffer=1 iui=0
_ds_load_u16 v[vgprValuA_X1_I0+3], v[vgprLocalReadAddrA] offset:2688 // L -> Reg lro=1024 swapByteOffset=0 ti=64 vIdx=1 rIdx=2 oIdx=0 buffer=1 iui=0
_ds_load_u16_d16_hi v91, v[vgprLocalReadAddrA] offset:2944 // L -> Reg lro=1024 swapByteOffset=0 ti=64 vIdx=1 rIdx=3 oIdx=0 buffer=1 iui=0
s_addc_u32  s[sgprSrdB+1], s[sgprSrdB+1], 0        // gra SRD += inc(upper)
s_sub_u32 s[sgprShadowLimitB+0], s[sgprShadowLimitB+0], s[sgprGlobalReadIncsB+0] // limit -= inc)
s_subb_u32 s[sgprShadowLimitB+1], s[sgprShadowLimitB+1], 0 // limit -= inc)
s_cmp_eq_u32 s[sgprShadowLimitB+1], 0              // are we within 2^32?
s_cmov_b32 s[sgprSrdB+2], s[sgprShadowLimitB+0]    // Move shadow to real if we are within 2^32
v_mfma_f32_32x32x8bf16_1k a[48+0:63+0], v[vgprValuB_X0_I0+2+0+0:vgprValuB_X0_I0+2+0+0+1], v[vgprValuA_X0_I0+2+0+0:vgprValuA_X0_I0+2+0+0+1], a[48:63]
/*  mfmaIndex:3  */
_ds_load_u16 v[vgprValuB_X1_I0+2], v[vgprLocalReadAddrB] offset:3200 // L -> Reg lro=1536 swapByteOffset=0 ti=64 vIdx=1 rIdx=0 oIdx=0 buffer=1 iui=0
_ds_load_u16_d16_hi v94, v[vgprLocalReadAddrB] offset:3584 // L -> Reg lro=1536 swapByteOffset=0 ti=64 vIdx=1 rIdx=1 oIdx=0 buffer=1 iui=0
_ds_load_u16 v[vgprValuB_X1_I0+3], v[vgprLocalReadAddrB] offset:3968 // L -> Reg lro=1536 swapByteOffset=0 ti=64 vIdx=1 rIdx=2 oIdx=0 buffer=1 iui=0
_ds_load_u16_d16_hi v95, v[vgprLocalReadAddrB] offset:4352 // L -> Reg lro=1536 swapByteOffset=0 ti=64 vIdx=1 rIdx=3 oIdx=0 buffer=1 iui=0
	;; [unrolled: 2-line block ×3, first 2 shown]
v_mfma_f32_32x32x8bf16_1k a[32+0:47+0], v[vgprValuB_X0_I0+2+0+0:vgprValuB_X0_I0+2+0+0+1], v[vgprValuA_X0_I0+0+0+0:vgprValuA_X0_I0+0+0+0+1], a[32:47]
/*  mfmaIndex:4  */
_ds_load_u16 v[vgprValuB_X1_I0+5], v[vgprLocalReadAddrB] offset:4096 // L -> Reg lro=1536 swapByteOffset=0 ti=64 vIdx=2 rIdx=2 oIdx=0 buffer=1 iui=0
_ds_load_u16_d16_hi v97, v[vgprLocalReadAddrB] offset:4480 // L -> Reg lro=1536 swapByteOffset=0 ti=64 vIdx=2 rIdx=3 oIdx=0 buffer=1 iui=0
/* localReadsVacancy: latencyLeft 3 */
_ds_load_u16 v[vgprValuA_X2_I0+0], v[vgprLocalReadAddrA] offset:4096 // L -> Reg lro=2048 swapByteOffset=0 ti=64 vIdx=0 rIdx=0 oIdx=0 buffer=2 iui=0
/* sched write - iter 0 writesPerItem=1 */
s_waitcnt vmcnt(0)                                 // lgkmcnt=-1 vmcnt=0wait for global read before writing to local
v_cvt_f32_f16 v[vgprG2Lpipe0], v[vgprG2LA+0]       // 
v_cmp_u_f32 s[sgprFp16AltNanCheck:sgprFp16AltNanCheck+1], v[vgprG2Lpipe0], v[vgprG2Lpipe0] // check NaN
v_add_u32 v[vgprFp16AltTmp], s[sgprFp16AltOffset], v[vgprG2Lpipe0] // 
v_cndmask_b32 v[vgprG2Lpipe0], v[vgprFp16AltTmp], v[vgprG2Lpipe0], s[sgprFp16AltNanCheck:sgprFp16AltNanCheck+1] // 
v_cvt_f32_f16 v[vgprG2Lpipe1], v[vgprG2LA+0], src0_sel:WORD_1 // 
v_cmp_u_f32 s[sgprFp16AltNanCheck:sgprFp16AltNanCheck+1], v[vgprG2Lpipe1], v[vgprG2Lpipe1] // check NaN
v_add_u32 v[vgprFp16AltTmp], s[sgprFp16AltOffset], v[vgprG2Lpipe1] // 
v_cndmask_b32 v[vgprG2Lpipe1], v[vgprFp16AltTmp], v[vgprG2Lpipe1], s[sgprFp16AltNanCheck:sgprFp16AltNanCheck+1] // 
v_pack_b32_f16 v[vgprG2LA+0], v[vgprG2Lpipe0], v[vgprG2Lpipe1], op_sel:[1,1,0] // 
v_cvt_f32_f16 v[vgprG2Lpipe0], v[vgprG2LA+1]       // 
v_cmp_u_f32 s[sgprFp16AltNanCheck:sgprFp16AltNanCheck+1], v[vgprG2Lpipe0], v[vgprG2Lpipe0] // check NaN
v_add_u32 v[vgprFp16AltTmp], s[sgprFp16AltOffset], v[vgprG2Lpipe0] // 
v_cndmask_b32 v[vgprG2Lpipe0], v[vgprFp16AltTmp], v[vgprG2Lpipe0], s[sgprFp16AltNanCheck:sgprFp16AltNanCheck+1] // 
v_cvt_f32_f16 v[vgprG2Lpipe1], v[vgprG2LA+1], src0_sel:WORD_1 // 
v_cmp_u_f32 s[sgprFp16AltNanCheck:sgprFp16AltNanCheck+1], v[vgprG2Lpipe1], v[vgprG2Lpipe1] // check NaN
v_add_u32 v[vgprFp16AltTmp], s[sgprFp16AltOffset], v[vgprG2Lpipe1] // 
v_cndmask_b32 v[vgprG2Lpipe1], v[vgprFp16AltTmp], v[vgprG2Lpipe1], s[sgprFp16AltNanCheck:sgprFp16AltNanCheck+1] // 
v_pack_b32_f16 v[vgprG2LA+1], v[vgprG2Lpipe0], v[vgprG2Lpipe1], op_sel:[1,1,0] // 
_ds_store_b64 v[vgprLocalWriteAddrA], v[vgprG2LA+0:vgprG2LA+0+1] offset:0 // lwoA_0_0_0_0 = (0*LSCA) + (0*LSPA)(*MT0I+PAD) = 0
v_mfma_f32_32x32x8bf16_1k a[64+0:79+0], v[vgprValuB_X0_I0+4+0+0:vgprValuB_X0_I0+4+0+0+1], v[vgprValuA_X0_I0+0+0+0:vgprValuA_X0_I0+0+0+0+1], a[64:79]
/*  mfmaIndex:5  */
/* localReadsVacancy: latencyLeft 7 */
_ds_load_u16 v[vgprValuA_X2_I0+1], v[vgprLocalReadAddrA] offset:4608 // L -> Reg lro=2048 swapByteOffset=0 ti=64 vIdx=0 rIdx=2 oIdx=0 buffer=2 iui=0
_ds_load_u16 v[vgprValuB_X2_I0+0], v[vgprLocalReadAddrB] offset:6144 // L -> Reg lro=3072 swapByteOffset=0 ti=64 vIdx=0 rIdx=0 oIdx=0 buffer=2 iui=0
_ds_load_u16 v[vgprValuB_X2_I0+1], v[vgprLocalReadAddrB] offset:6912 // L -> Reg lro=3072 swapByteOffset=0 ti=64 vIdx=0 rIdx=2 oIdx=0 buffer=2 iui=0
_buffer_load_b64 v[vgprG2LA+0:vgprG2LA+0+1], v[vgprGlobalReadOffsetA+0], s[sgprSrdA:sgprSrdA+3], 0, offen offset:0 // G -> Reg 0_0_0_0
/* sched write - iter 0 writesPerItem=1 */
s_waitcnt vmcnt(0)                                 // lgkmcnt=-1 vmcnt=0wait for global read before writing to local
v_cvt_f32_f16 v[vgprG2Lpipe0], v[vgprG2LA+2]       // 
v_cmp_u_f32 s[sgprFp16AltNanCheck:sgprFp16AltNanCheck+1], v[vgprG2Lpipe0], v[vgprG2Lpipe0] // check NaN
v_add_u32 v[vgprFp16AltTmp], s[sgprFp16AltOffset], v[vgprG2Lpipe0] // 
v_cndmask_b32 v[vgprG2Lpipe0], v[vgprFp16AltTmp], v[vgprG2Lpipe0], s[sgprFp16AltNanCheck:sgprFp16AltNanCheck+1] // 
v_cvt_f32_f16 v[vgprG2Lpipe1], v[vgprG2LA+2], src0_sel:WORD_1 // 
v_cmp_u_f32 s[sgprFp16AltNanCheck:sgprFp16AltNanCheck+1], v[vgprG2Lpipe1], v[vgprG2Lpipe1] // check NaN
v_add_u32 v[vgprFp16AltTmp], s[sgprFp16AltOffset], v[vgprG2Lpipe1] // 
v_cndmask_b32 v[vgprG2Lpipe1], v[vgprFp16AltTmp], v[vgprG2Lpipe1], s[sgprFp16AltNanCheck:sgprFp16AltNanCheck+1] // 
v_pack_b32_f16 v[vgprG2LA+2], v[vgprG2Lpipe0], v[vgprG2Lpipe1], op_sel:[1,1,0] // 
v_cvt_f32_f16 v[vgprG2Lpipe0], v[vgprG2LA+3]       // 
v_cmp_u_f32 s[sgprFp16AltNanCheck:sgprFp16AltNanCheck+1], v[vgprG2Lpipe0], v[vgprG2Lpipe0] // check NaN
v_add_u32 v[vgprFp16AltTmp], s[sgprFp16AltOffset], v[vgprG2Lpipe0] // 
v_cndmask_b32 v[vgprG2Lpipe0], v[vgprFp16AltTmp], v[vgprG2Lpipe0], s[sgprFp16AltNanCheck:sgprFp16AltNanCheck+1] // 
v_cvt_f32_f16 v[vgprG2Lpipe1], v[vgprG2LA+3], src0_sel:WORD_1 // 
v_cmp_u_f32 s[sgprFp16AltNanCheck:sgprFp16AltNanCheck+1], v[vgprG2Lpipe1], v[vgprG2Lpipe1] // check NaN
v_add_u32 v[vgprFp16AltTmp], s[sgprFp16AltOffset], v[vgprG2Lpipe1] // 
v_cndmask_b32 v[vgprG2Lpipe1], v[vgprFp16AltTmp], v[vgprG2Lpipe1], s[sgprFp16AltNanCheck:sgprFp16AltNanCheck+1] // 
v_pack_b32_f16 v[vgprG2LA+3], v[vgprG2Lpipe0], v[vgprG2Lpipe1], op_sel:[1,1,0] // 
_ds_store_b64 v[vgprLocalWriteAddrA], v[vgprG2LA+2:vgprG2LA+2+1] offset:2048 // lwoA_0_0_1_0 = (0*LSCA) + (1*LSPA)(*MT0I+PAD) = 2048
v_mfma_f32_32x32x8bf16_1k a[80+0:95+0], v[vgprValuB_X0_I0+4+0+0:vgprValuB_X0_I0+4+0+0+1], v[vgprValuA_X0_I0+2+0+0:vgprValuA_X0_I0+2+0+0+1], a[80:95]
/* numPrefetchIter=0 */
/* dataAtIterA=-1 numReadsIterA=1 skipReadsIterA=1 readsPerIterA=8 */
/* dataAtIterB=-1 numReadsIterB=1 skipReadsIterB=1 readsPerIterB=12 */


/* iter 1 */

/*  grEndMfmaIndex:2, lwStartMfmaIndex:4, lwEndMfmaIndex:18  */
/*  numMfmaForLR:4, barrierMfmaIndex:19, LocalWritePerMfma:0.670 */
/*  mfmaIndex:6  */
_ds_load_u16_d16_hi v78, v[vgprLocalReadAddrA] offset:4352 // L -> Reg lro=2048 swapByteOffset=0 ti=64 vIdx=0 rIdx=1 oIdx=0 buffer=2 iui=0
_ds_load_u16_d16_hi v79, v[vgprLocalReadAddrA] offset:4864 // L -> Reg lro=2048 swapByteOffset=0 ti=64 vIdx=0 rIdx=3 oIdx=0 buffer=2 iui=0
_ds_load_u16_d16_hi v82, v[vgprLocalReadAddrB] offset:6528 // L -> Reg lro=3072 swapByteOffset=0 ti=64 vIdx=0 rIdx=1 oIdx=0 buffer=2 iui=0
_buffer_load_b64 v[vgprG2LA+2:vgprG2LA+2+1], v[vgprGlobalReadOffsetA+1], s[sgprSrdA:sgprSrdA+3], 0, offen offset:0 // G -> Reg 0_0_1_0
/* sched write - iter 1 writesPerItem=1 */
s_waitcnt vmcnt(0)                                 // lgkmcnt=-1 vmcnt=0wait for global read before writing to local
v_cvt_f32_f16 v[vgprG2Lpipe0], v[vgprG2LA+4]       // 
v_cmp_u_f32 s[sgprFp16AltNanCheck:sgprFp16AltNanCheck+1], v[vgprG2Lpipe0], v[vgprG2Lpipe0] // check NaN
v_add_u32 v[vgprFp16AltTmp], s[sgprFp16AltOffset], v[vgprG2Lpipe0] // 
v_cndmask_b32 v[vgprG2Lpipe0], v[vgprFp16AltTmp], v[vgprG2Lpipe0], s[sgprFp16AltNanCheck:sgprFp16AltNanCheck+1] // 
v_cvt_f32_f16 v[vgprG2Lpipe1], v[vgprG2LA+4], src0_sel:WORD_1 // 
v_cmp_u_f32 s[sgprFp16AltNanCheck:sgprFp16AltNanCheck+1], v[vgprG2Lpipe1], v[vgprG2Lpipe1] // check NaN
v_add_u32 v[vgprFp16AltTmp], s[sgprFp16AltOffset], v[vgprG2Lpipe1] // 
v_cndmask_b32 v[vgprG2Lpipe1], v[vgprFp16AltTmp], v[vgprG2Lpipe1], s[sgprFp16AltNanCheck:sgprFp16AltNanCheck+1] // 
v_pack_b32_f16 v[vgprG2LA+4], v[vgprG2Lpipe0], v[vgprG2Lpipe1], op_sel:[1,1,0] // 
v_cvt_f32_f16 v[vgprG2Lpipe0], v[vgprG2LA+5]       // 
v_cmp_u_f32 s[sgprFp16AltNanCheck:sgprFp16AltNanCheck+1], v[vgprG2Lpipe0], v[vgprG2Lpipe0] // check NaN
v_add_u32 v[vgprFp16AltTmp], s[sgprFp16AltOffset], v[vgprG2Lpipe0] // 
v_cndmask_b32 v[vgprG2Lpipe0], v[vgprFp16AltTmp], v[vgprG2Lpipe0], s[sgprFp16AltNanCheck:sgprFp16AltNanCheck+1] // 
v_cvt_f32_f16 v[vgprG2Lpipe1], v[vgprG2LA+5], src0_sel:WORD_1 // 
v_cmp_u_f32 s[sgprFp16AltNanCheck:sgprFp16AltNanCheck+1], v[vgprG2Lpipe1], v[vgprG2Lpipe1] // check NaN
v_add_u32 v[vgprFp16AltTmp], s[sgprFp16AltOffset], v[vgprG2Lpipe1] // 
v_cndmask_b32 v[vgprG2Lpipe1], v[vgprFp16AltTmp], v[vgprG2Lpipe1], s[sgprFp16AltNanCheck:sgprFp16AltNanCheck+1] // 
v_pack_b32_f16 v[vgprG2LA+5], v[vgprG2Lpipe0], v[vgprG2Lpipe1], op_sel:[1,1,0] // 
_ds_store_b64 v[vgprLocalWriteAddrA], v[vgprG2LA+4:vgprG2LA+4+1] offset:4096 // lwoA_0_0_2_0 = (0*LSCA) + (2*LSPA)(*MT0I+PAD) = 4096
s_waitcnt lgkmcnt(10)                              // lgkmcnt=0 vmcnt=-1wait for prior local read local write old=4, new=10 newLW=3 newLR=3
/* pack scheduling: packAIdx:2, packBIdx:2 */
v_or_b32 v[vgprValuA_X1_I0+0], v[vgprValuA_X1_I0+0], v88 // pack two half Vgpr to one Vgpr
v_or_b32 v[vgprValuA_X1_I0+1], v[vgprValuA_X1_I0+1], v89 // pack two half Vgpr to one Vgpr
v_or_b32 v[vgprValuB_X1_I0+0], v[vgprValuB_X1_I0+0], v92 // pack two half Vgpr to one Vgpr
v_or_b32 v[vgprValuB_X1_I0+1], v[vgprValuB_X1_I0+1], v93 // pack two half Vgpr to one Vgpr
v_or_b32 v[vgprValuA_X1_I0+2], v[vgprValuA_X1_I0+2], v90 // pack two half Vgpr to one Vgpr
v_or_b32 v[vgprValuA_X1_I0+3], v[vgprValuA_X1_I0+3], v91 // pack two half Vgpr to one Vgpr
v_mfma_f32_32x32x8bf16_1k a[0+0:15+0], v[vgprValuB_X1_I0+0+0+0:vgprValuB_X1_I0+0+0+0+1], v[vgprValuA_X1_I0+0+0+0:vgprValuA_X1_I0+0+0+0+1], a[0:15]
/*  mfmaIndex:7  */
_ds_load_u16_d16_hi v83, v[vgprLocalReadAddrB] offset:7296 // L -> Reg lro=3072 swapByteOffset=0 ti=64 vIdx=0 rIdx=3 oIdx=0 buffer=2 iui=0
_ds_load_u16 v[vgprValuA_X2_I0+2], v[vgprLocalReadAddrA] offset:4224 // L -> Reg lro=2048 swapByteOffset=0 ti=64 vIdx=1 rIdx=0 oIdx=0 buffer=2 iui=0
_ds_load_u16_d16_hi v80, v[vgprLocalReadAddrA] offset:4480 // L -> Reg lro=2048 swapByteOffset=0 ti=64 vIdx=1 rIdx=1 oIdx=0 buffer=2 iui=0
_ds_load_u16 v[vgprValuA_X2_I0+3], v[vgprLocalReadAddrA] offset:4736 // L -> Reg lro=2048 swapByteOffset=0 ti=64 vIdx=1 rIdx=2 oIdx=0 buffer=2 iui=0
_ds_load_u16_d16_hi v81, v[vgprLocalReadAddrA] offset:4992 // L -> Reg lro=2048 swapByteOffset=0 ti=64 vIdx=1 rIdx=3 oIdx=0 buffer=2 iui=0
_ds_load_u16 v[vgprValuB_X2_I0+2], v[vgprLocalReadAddrB] offset:6272 // L -> Reg lro=3072 swapByteOffset=0 ti=64 vIdx=1 rIdx=0 oIdx=0 buffer=2 iui=0
_buffer_load_b64 v[vgprG2LA+4:vgprG2LA+4+1], v[vgprGlobalReadOffsetA+2], s[sgprSrdA:sgprSrdA+3], 0, offen offset:0 // G -> Reg 0_0_2_0
/* pack scheduling: packAIdx:4, packBIdx:2 */
v_or_b32 v[vgprValuB_X1_I0+2], v[vgprValuB_X1_I0+2], v94 // pack two half Vgpr to one Vgpr
v_or_b32 v[vgprValuB_X1_I0+3], v[vgprValuB_X1_I0+3], v95 // pack two half Vgpr to one Vgpr
	;; [unrolled: 1-line block ×4, first 2 shown]
v_mfma_f32_32x32x8bf16_1k a[16+0:31+0], v[vgprValuB_X1_I0+0+0+0:vgprValuB_X1_I0+0+0+0+1], v[vgprValuA_X1_I0+2+0+0:vgprValuA_X1_I0+2+0+0+1], a[16:31]
/*  mfmaIndex:8  */
_ds_load_u16_d16_hi v84, v[vgprLocalReadAddrB] offset:6656 // L -> Reg lro=3072 swapByteOffset=0 ti=64 vIdx=1 rIdx=1 oIdx=0 buffer=2 iui=0
_ds_load_u16 v[vgprValuB_X2_I0+3], v[vgprLocalReadAddrB] offset:7040 // L -> Reg lro=3072 swapByteOffset=0 ti=64 vIdx=1 rIdx=2 oIdx=0 buffer=2 iui=0
_ds_load_u16_d16_hi v85, v[vgprLocalReadAddrB] offset:7424 // L -> Reg lro=3072 swapByteOffset=0 ti=64 vIdx=1 rIdx=3 oIdx=0 buffer=2 iui=0
/* sched write - iter 1 writesPerItem=1 */
s_waitcnt vmcnt(0)                                 // lgkmcnt=-1 vmcnt=0wait for global read before writing to local
v_cvt_f32_f16 v[vgprG2Lpipe0], v[vgprG2LA+6]       // 
v_cmp_u_f32 s[sgprFp16AltNanCheck:sgprFp16AltNanCheck+1], v[vgprG2Lpipe0], v[vgprG2Lpipe0] // check NaN
v_add_u32 v[vgprFp16AltTmp], s[sgprFp16AltOffset], v[vgprG2Lpipe0] // 
v_cndmask_b32 v[vgprG2Lpipe0], v[vgprFp16AltTmp], v[vgprG2Lpipe0], s[sgprFp16AltNanCheck:sgprFp16AltNanCheck+1] // 
v_cvt_f32_f16 v[vgprG2Lpipe1], v[vgprG2LA+6], src0_sel:WORD_1 // 
v_cmp_u_f32 s[sgprFp16AltNanCheck:sgprFp16AltNanCheck+1], v[vgprG2Lpipe1], v[vgprG2Lpipe1] // check NaN
v_add_u32 v[vgprFp16AltTmp], s[sgprFp16AltOffset], v[vgprG2Lpipe1] // 
v_cndmask_b32 v[vgprG2Lpipe1], v[vgprFp16AltTmp], v[vgprG2Lpipe1], s[sgprFp16AltNanCheck:sgprFp16AltNanCheck+1] // 
v_pack_b32_f16 v[vgprG2LA+6], v[vgprG2Lpipe0], v[vgprG2Lpipe1], op_sel:[1,1,0] // 
v_cvt_f32_f16 v[vgprG2Lpipe0], v[vgprG2LA+7]       // 
v_cmp_u_f32 s[sgprFp16AltNanCheck:sgprFp16AltNanCheck+1], v[vgprG2Lpipe0], v[vgprG2Lpipe0] // check NaN
v_add_u32 v[vgprFp16AltTmp], s[sgprFp16AltOffset], v[vgprG2Lpipe0] // 
v_cndmask_b32 v[vgprG2Lpipe0], v[vgprFp16AltTmp], v[vgprG2Lpipe0], s[sgprFp16AltNanCheck:sgprFp16AltNanCheck+1] // 
v_cvt_f32_f16 v[vgprG2Lpipe1], v[vgprG2LA+7], src0_sel:WORD_1 // 
v_cmp_u_f32 s[sgprFp16AltNanCheck:sgprFp16AltNanCheck+1], v[vgprG2Lpipe1], v[vgprG2Lpipe1] // check NaN
v_add_u32 v[vgprFp16AltTmp], s[sgprFp16AltOffset], v[vgprG2Lpipe1] // 
v_cndmask_b32 v[vgprG2Lpipe1], v[vgprFp16AltTmp], v[vgprG2Lpipe1], s[sgprFp16AltNanCheck:sgprFp16AltNanCheck+1] // 
v_pack_b32_f16 v[vgprG2LA+7], v[vgprG2Lpipe0], v[vgprG2Lpipe1], op_sel:[1,1,0] // 
_ds_store_b64 v[vgprLocalWriteAddrA], v[vgprG2LA+6:vgprG2LA+6+1] offset:6144 // lwoA_0_0_3_0 = (0*LSCA) + (3*LSPA)(*MT0I+PAD) = 6144
v_mfma_f32_32x32x8bf16_1k a[48+0:63+0], v[vgprValuB_X1_I0+2+0+0:vgprValuB_X1_I0+2+0+0+1], v[vgprValuA_X1_I0+2+0+0:vgprValuA_X1_I0+2+0+0+1], a[48:63]
/*  mfmaIndex:9  */
_ds_load_u16 v[vgprValuB_X2_I0+4], v[vgprLocalReadAddrB] offset:6400 // L -> Reg lro=3072 swapByteOffset=0 ti=64 vIdx=2 rIdx=0 oIdx=0 buffer=2 iui=0
_ds_load_u16_d16_hi v86, v[vgprLocalReadAddrB] offset:6784 // L -> Reg lro=3072 swapByteOffset=0 ti=64 vIdx=2 rIdx=1 oIdx=0 buffer=2 iui=0
_ds_load_u16 v[vgprValuB_X2_I0+5], v[vgprLocalReadAddrB] offset:7168 // L -> Reg lro=3072 swapByteOffset=0 ti=64 vIdx=2 rIdx=2 oIdx=0 buffer=2 iui=0
_buffer_load_b64 v[vgprG2LA+6:vgprG2LA+6+1], v[vgprGlobalReadOffsetA+3], s[sgprSrdA:sgprSrdA+3], 0, offen offset:0 // G -> Reg 0_0_3_0
/* sched write - iter 1 writesPerItem=1 */
s_waitcnt vmcnt(0)                                 // lgkmcnt=-1 vmcnt=0wait for global read before writing to local
v_cvt_f32_f16 v[vgprG2Lpipe0], v[vgprG2LB+0]       // 
v_cmp_u_f32 s[sgprFp16AltNanCheck:sgprFp16AltNanCheck+1], v[vgprG2Lpipe0], v[vgprG2Lpipe0] // check NaN
v_add_u32 v[vgprFp16AltTmp], s[sgprFp16AltOffset], v[vgprG2Lpipe0] // 
v_cndmask_b32 v[vgprG2Lpipe0], v[vgprFp16AltTmp], v[vgprG2Lpipe0], s[sgprFp16AltNanCheck:sgprFp16AltNanCheck+1] // 
v_cvt_f32_f16 v[vgprG2Lpipe1], v[vgprG2LB+0], src0_sel:WORD_1 // 
v_cmp_u_f32 s[sgprFp16AltNanCheck:sgprFp16AltNanCheck+1], v[vgprG2Lpipe1], v[vgprG2Lpipe1] // check NaN
v_add_u32 v[vgprFp16AltTmp], s[sgprFp16AltOffset], v[vgprG2Lpipe1] // 
v_cndmask_b32 v[vgprG2Lpipe1], v[vgprFp16AltTmp], v[vgprG2Lpipe1], s[sgprFp16AltNanCheck:sgprFp16AltNanCheck+1] // 
v_pack_b32_f16 v[vgprG2LB+0], v[vgprG2Lpipe0], v[vgprG2Lpipe1], op_sel:[1,1,0] // 
v_cvt_f32_f16 v[vgprG2Lpipe0], v[vgprG2LB+1]       // 
v_cmp_u_f32 s[sgprFp16AltNanCheck:sgprFp16AltNanCheck+1], v[vgprG2Lpipe0], v[vgprG2Lpipe0] // check NaN
v_add_u32 v[vgprFp16AltTmp], s[sgprFp16AltOffset], v[vgprG2Lpipe0] // 
v_cndmask_b32 v[vgprG2Lpipe0], v[vgprFp16AltTmp], v[vgprG2Lpipe0], s[sgprFp16AltNanCheck:sgprFp16AltNanCheck+1] // 
v_cvt_f32_f16 v[vgprG2Lpipe1], v[vgprG2LB+1], src0_sel:WORD_1 // 
v_cmp_u_f32 s[sgprFp16AltNanCheck:sgprFp16AltNanCheck+1], v[vgprG2Lpipe1], v[vgprG2Lpipe1] // check NaN
v_add_u32 v[vgprFp16AltTmp], s[sgprFp16AltOffset], v[vgprG2Lpipe1] // 
v_cndmask_b32 v[vgprG2Lpipe1], v[vgprFp16AltTmp], v[vgprG2Lpipe1], s[sgprFp16AltNanCheck:sgprFp16AltNanCheck+1] // 
v_pack_b32_f16 v[vgprG2LB+1], v[vgprG2Lpipe0], v[vgprG2Lpipe1], op_sel:[1,1,0] // 
_ds_store_b64 v[vgprLocalWriteAddrB], v[vgprG2LB+0:vgprG2LB+0+1] offset:0 // lwoB_0_0_0_0 = (0*LSCB) + (0*LSPB)(*MT1J+PAD) = 0
v_mfma_f32_32x32x8bf16_1k a[32+0:47+0], v[vgprValuB_X1_I0+2+0+0:vgprValuB_X1_I0+2+0+0+1], v[vgprValuA_X1_I0+0+0+0:vgprValuA_X1_I0+0+0+0+1], a[32:47]
/*  mfmaIndex:10  */
_ds_load_u16_d16_hi v87, v[vgprLocalReadAddrB] offset:7552 // L -> Reg lro=3072 swapByteOffset=0 ti=64 vIdx=2 rIdx=3 oIdx=0 buffer=2 iui=0
/* localReadsVacancy: latencyLeft 11 */
_ds_load_u16 v[vgprValuA_X3_I0+0], v[vgprLocalReadAddrA] offset:6144 // L -> Reg lro=3072 swapByteOffset=0 ti=64 vIdx=0 rIdx=0 oIdx=0 buffer=3 iui=0
_ds_load_u16 v[vgprValuA_X3_I0+1], v[vgprLocalReadAddrA] offset:6656 // L -> Reg lro=3072 swapByteOffset=0 ti=64 vIdx=0 rIdx=2 oIdx=0 buffer=3 iui=0
_ds_load_u16 v[vgprValuB_X3_I0+0], v[vgprLocalReadAddrB] offset:9216 // L -> Reg lro=4608 swapByteOffset=0 ti=64 vIdx=0 rIdx=0 oIdx=0 buffer=3 iui=0
_ds_load_u16 v[vgprValuB_X3_I0+1], v[vgprLocalReadAddrB] offset:9984 // L -> Reg lro=4608 swapByteOffset=0 ti=64 vIdx=0 rIdx=2 oIdx=0 buffer=3 iui=0
_ds_load_u16 v[vgprValuA_X3_I0+2], v[vgprLocalReadAddrA] offset:6272 // L -> Reg lro=3072 swapByteOffset=0 ti=64 vIdx=1 rIdx=0 oIdx=0 buffer=3 iui=0
_buffer_load_b64 v[vgprG2LB+0:vgprG2LB+0+1], v[vgprGlobalReadOffsetB+0], s[sgprSrdB:sgprSrdB+3], 0, offen offset:0 // G -> Reg 0_0_0_0
v_mfma_f32_32x32x8bf16_1k a[64+0:79+0], v[vgprValuB_X1_I0+4+0+0:vgprValuB_X1_I0+4+0+0+1], v[vgprValuA_X1_I0+0+0+0:vgprValuA_X1_I0+0+0+0+1], a[64:79]
/*  mfmaIndex:11  */
/* localReadsVacancy: latencyLeft 7 */
_ds_load_u16 v[vgprValuA_X3_I0+3], v[vgprLocalReadAddrA] offset:6784 // L -> Reg lro=3072 swapByteOffset=0 ti=64 vIdx=1 rIdx=2 oIdx=0 buffer=3 iui=0
_ds_load_u16 v[vgprValuB_X3_I0+2], v[vgprLocalReadAddrB] offset:9344 // L -> Reg lro=4608 swapByteOffset=0 ti=64 vIdx=1 rIdx=0 oIdx=0 buffer=3 iui=0
_ds_load_u16 v[vgprValuB_X3_I0+3], v[vgprLocalReadAddrB] offset:10112 // L -> Reg lro=4608 swapByteOffset=0 ti=64 vIdx=1 rIdx=2 oIdx=0 buffer=3 iui=0
/* sched write - iter 1 writesPerItem=1 */
s_waitcnt vmcnt(0)                                 // lgkmcnt=-1 vmcnt=0wait for global read before writing to local
v_cvt_f32_f16 v[vgprG2Lpipe0], v[vgprG2LB+2]       // 
v_cmp_u_f32 s[sgprFp16AltNanCheck:sgprFp16AltNanCheck+1], v[vgprG2Lpipe0], v[vgprG2Lpipe0] // check NaN
v_add_u32 v[vgprFp16AltTmp], s[sgprFp16AltOffset], v[vgprG2Lpipe0] // 
v_cndmask_b32 v[vgprG2Lpipe0], v[vgprFp16AltTmp], v[vgprG2Lpipe0], s[sgprFp16AltNanCheck:sgprFp16AltNanCheck+1] // 
v_cvt_f32_f16 v[vgprG2Lpipe1], v[vgprG2LB+2], src0_sel:WORD_1 // 
v_cmp_u_f32 s[sgprFp16AltNanCheck:sgprFp16AltNanCheck+1], v[vgprG2Lpipe1], v[vgprG2Lpipe1] // check NaN
v_add_u32 v[vgprFp16AltTmp], s[sgprFp16AltOffset], v[vgprG2Lpipe1] // 
v_cndmask_b32 v[vgprG2Lpipe1], v[vgprFp16AltTmp], v[vgprG2Lpipe1], s[sgprFp16AltNanCheck:sgprFp16AltNanCheck+1] // 
v_pack_b32_f16 v[vgprG2LB+2], v[vgprG2Lpipe0], v[vgprG2Lpipe1], op_sel:[1,1,0] // 
v_cvt_f32_f16 v[vgprG2Lpipe0], v[vgprG2LB+3]       // 
v_cmp_u_f32 s[sgprFp16AltNanCheck:sgprFp16AltNanCheck+1], v[vgprG2Lpipe0], v[vgprG2Lpipe0] // check NaN
v_add_u32 v[vgprFp16AltTmp], s[sgprFp16AltOffset], v[vgprG2Lpipe0] // 
v_cndmask_b32 v[vgprG2Lpipe0], v[vgprFp16AltTmp], v[vgprG2Lpipe0], s[sgprFp16AltNanCheck:sgprFp16AltNanCheck+1] // 
v_cvt_f32_f16 v[vgprG2Lpipe1], v[vgprG2LB+3], src0_sel:WORD_1 // 
v_cmp_u_f32 s[sgprFp16AltNanCheck:sgprFp16AltNanCheck+1], v[vgprG2Lpipe1], v[vgprG2Lpipe1] // check NaN
v_add_u32 v[vgprFp16AltTmp], s[sgprFp16AltOffset], v[vgprG2Lpipe1] // 
v_cndmask_b32 v[vgprG2Lpipe1], v[vgprFp16AltTmp], v[vgprG2Lpipe1], s[sgprFp16AltNanCheck:sgprFp16AltNanCheck+1] // 
v_pack_b32_f16 v[vgprG2LB+3], v[vgprG2Lpipe0], v[vgprG2Lpipe1], op_sel:[1,1,0] // 
_ds_store_b64 v[vgprLocalWriteAddrB], v[vgprG2LB+2:vgprG2LB+2+1] offset:128 // lwoB_1_0_0_0 = (1*LSCB) + (0*LSPB)(*MT1J+PAD) = 128
v_mfma_f32_32x32x8bf16_1k a[80+0:95+0], v[vgprValuB_X1_I0+4+0+0:vgprValuB_X1_I0+4+0+0+1], v[vgprValuA_X1_I0+2+0+0:vgprValuA_X1_I0+2+0+0+1], a[80:95]
/* numPrefetchIter=0 */
/* dataAtIterA=0 numReadsIterA=2 skipReadsIterA=1 readsPerIterA=8 */
/* dataAtIterB=0 numReadsIterB=2 skipReadsIterB=1 readsPerIterB=12 */


/* iter 2 (reset local read pointers iteration)  (swap local read pointers iteration)  */

/*  grEndMfmaIndex:2, lwStartMfmaIndex:4, lwEndMfmaIndex:18  */
/*  numMfmaForLR:4, barrierMfmaIndex:19, LocalWritePerMfma:0.670 */
/*  mfmaIndex:12  */
_ds_load_u16_d16_hi v88, v[vgprLocalReadAddrA] offset:6400 // L -> Reg lro=3072 swapByteOffset=0 ti=64 vIdx=0 rIdx=1 oIdx=0 buffer=3 iui=0
_ds_load_u16_d16_hi v89, v[vgprLocalReadAddrA] offset:6912 // L -> Reg lro=3072 swapByteOffset=0 ti=64 vIdx=0 rIdx=3 oIdx=0 buffer=3 iui=0
_ds_load_u16_d16_hi v92, v[vgprLocalReadAddrB] offset:9600 // L -> Reg lro=4608 swapByteOffset=0 ti=64 vIdx=0 rIdx=1 oIdx=0 buffer=3 iui=0
_buffer_load_b64 v[vgprG2LB+2:vgprG2LB+2+1], v[vgprGlobalReadOffsetB+1], s[sgprSrdB:sgprSrdB+3], 0, offen offset:0 // G -> Reg 1_0_0_0
/* sched write - iter 2 writesPerItem=1 */
s_waitcnt vmcnt(0)                                 // lgkmcnt=-1 vmcnt=0wait for global read before writing to local
v_cvt_f32_f16 v[vgprG2Lpipe0], v[vgprG2LB+4]       // 
v_cmp_u_f32 s[sgprFp16AltNanCheck:sgprFp16AltNanCheck+1], v[vgprG2Lpipe0], v[vgprG2Lpipe0] // check NaN
v_add_u32 v[vgprFp16AltTmp], s[sgprFp16AltOffset], v[vgprG2Lpipe0] // 
v_cndmask_b32 v[vgprG2Lpipe0], v[vgprFp16AltTmp], v[vgprG2Lpipe0], s[sgprFp16AltNanCheck:sgprFp16AltNanCheck+1] // 
v_cvt_f32_f16 v[vgprG2Lpipe1], v[vgprG2LB+4], src0_sel:WORD_1 // 
v_cmp_u_f32 s[sgprFp16AltNanCheck:sgprFp16AltNanCheck+1], v[vgprG2Lpipe1], v[vgprG2Lpipe1] // check NaN
v_add_u32 v[vgprFp16AltTmp], s[sgprFp16AltOffset], v[vgprG2Lpipe1] // 
v_cndmask_b32 v[vgprG2Lpipe1], v[vgprFp16AltTmp], v[vgprG2Lpipe1], s[sgprFp16AltNanCheck:sgprFp16AltNanCheck+1] // 
v_pack_b32_f16 v[vgprG2LB+4], v[vgprG2Lpipe0], v[vgprG2Lpipe1], op_sel:[1,1,0] // 
v_cvt_f32_f16 v[vgprG2Lpipe0], v[vgprG2LB+5]       // 
v_cmp_u_f32 s[sgprFp16AltNanCheck:sgprFp16AltNanCheck+1], v[vgprG2Lpipe0], v[vgprG2Lpipe0] // check NaN
v_add_u32 v[vgprFp16AltTmp], s[sgprFp16AltOffset], v[vgprG2Lpipe0] // 
v_cndmask_b32 v[vgprG2Lpipe0], v[vgprFp16AltTmp], v[vgprG2Lpipe0], s[sgprFp16AltNanCheck:sgprFp16AltNanCheck+1] // 
v_cvt_f32_f16 v[vgprG2Lpipe1], v[vgprG2LB+5], src0_sel:WORD_1 // 
v_cmp_u_f32 s[sgprFp16AltNanCheck:sgprFp16AltNanCheck+1], v[vgprG2Lpipe1], v[vgprG2Lpipe1] // check NaN
v_add_u32 v[vgprFp16AltTmp], s[sgprFp16AltOffset], v[vgprG2Lpipe1] // 
v_cndmask_b32 v[vgprG2Lpipe1], v[vgprFp16AltTmp], v[vgprG2Lpipe1], s[sgprFp16AltNanCheck:sgprFp16AltNanCheck+1] // 
v_pack_b32_f16 v[vgprG2LB+5], v[vgprG2Lpipe0], v[vgprG2Lpipe1], op_sel:[1,1,0] // 
_ds_store_b64 v[vgprLocalWriteAddrB], v[vgprG2LB+4:vgprG2LB+4+1] offset:256 // lwoB_2_0_0_0 = (2*LSCB) + (0*LSPB)(*MT1J+PAD) = 256
s_waitcnt lgkmcnt(13)                              // lgkmcnt=0 vmcnt=-1wait for prior local read local write old=8, new=13 newLW=2 newLR=3
/* pack scheduling: packAIdx:2, packBIdx:2 */
v_or_b32 v[vgprValuA_X2_I0+0], v[vgprValuA_X2_I0+0], v78 // pack two half Vgpr to one Vgpr
v_or_b32 v[vgprValuA_X2_I0+1], v[vgprValuA_X2_I0+1], v79 // pack two half Vgpr to one Vgpr
v_or_b32 v[vgprValuB_X2_I0+0], v[vgprValuB_X2_I0+0], v82 // pack two half Vgpr to one Vgpr
v_or_b32 v[vgprValuB_X2_I0+1], v[vgprValuB_X2_I0+1], v83 // pack two half Vgpr to one Vgpr
v_or_b32 v[vgprValuA_X2_I0+2], v[vgprValuA_X2_I0+2], v80 // pack two half Vgpr to one Vgpr
v_or_b32 v[vgprValuA_X2_I0+3], v[vgprValuA_X2_I0+3], v81 // pack two half Vgpr to one Vgpr
v_mfma_f32_32x32x8bf16_1k a[0+0:15+0], v[vgprValuB_X2_I0+0+0+0:vgprValuB_X2_I0+0+0+0+1], v[vgprValuA_X2_I0+0+0+0:vgprValuA_X2_I0+0+0+0+1], a[0:15]
/*  mfmaIndex:13  */
_ds_load_u16_d16_hi v93, v[vgprLocalReadAddrB] offset:10368 // L -> Reg lro=4608 swapByteOffset=0 ti=64 vIdx=0 rIdx=3 oIdx=0 buffer=3 iui=0
_ds_load_u16_d16_hi v90, v[vgprLocalReadAddrA] offset:6528 // L -> Reg lro=3072 swapByteOffset=0 ti=64 vIdx=1 rIdx=1 oIdx=0 buffer=3 iui=0
_ds_load_u16_d16_hi v91, v[vgprLocalReadAddrA] offset:7040 // L -> Reg lro=3072 swapByteOffset=0 ti=64 vIdx=1 rIdx=3 oIdx=0 buffer=3 iui=0
_ds_load_u16_d16_hi v94, v[vgprLocalReadAddrB] offset:9728 // L -> Reg lro=4608 swapByteOffset=0 ti=64 vIdx=1 rIdx=1 oIdx=0 buffer=3 iui=0
_ds_load_u16_d16_hi v95, v[vgprLocalReadAddrB] offset:10496 // L -> Reg lro=4608 swapByteOffset=0 ti=64 vIdx=1 rIdx=3 oIdx=0 buffer=3 iui=0
_ds_load_u16 v[vgprValuB_X3_I0+4], v[vgprLocalReadAddrB] offset:9472 // L -> Reg lro=4608 swapByteOffset=0 ti=64 vIdx=2 rIdx=0 oIdx=0 buffer=3 iui=0
_buffer_load_b64 v[vgprG2LB+4:vgprG2LB+4+1], v[vgprGlobalReadOffsetB+2], s[sgprSrdB:sgprSrdB+3], 0, offen offset:0 // G -> Reg 2_0_0_0
/* pack scheduling: packAIdx:4, packBIdx:2 */
v_or_b32 v[vgprValuB_X2_I0+2], v[vgprValuB_X2_I0+2], v84 // pack two half Vgpr to one Vgpr
v_or_b32 v[vgprValuB_X2_I0+3], v[vgprValuB_X2_I0+3], v85 // pack two half Vgpr to one Vgpr
	;; [unrolled: 1-line block ×4, first 2 shown]
v_mfma_f32_32x32x8bf16_1k a[16+0:31+0], v[vgprValuB_X2_I0+0+0+0:vgprValuB_X2_I0+0+0+0+1], v[vgprValuA_X2_I0+2+0+0:vgprValuA_X2_I0+2+0+0+1], a[16:31]
/*  mfmaIndex:14  */
_ds_load_u16_d16_hi v96, v[vgprLocalReadAddrB] offset:9856 // L -> Reg lro=4608 swapByteOffset=0 ti=64 vIdx=2 rIdx=1 oIdx=0 buffer=3 iui=0
_ds_load_u16 v[vgprValuB_X3_I0+5], v[vgprLocalReadAddrB] offset:10240 // L -> Reg lro=4608 swapByteOffset=0 ti=64 vIdx=2 rIdx=2 oIdx=0 buffer=3 iui=0
_ds_load_u16_d16_hi v97, v[vgprLocalReadAddrB] offset:10624 // L -> Reg lro=4608 swapByteOffset=0 ti=64 vIdx=2 rIdx=3 oIdx=0 buffer=3 iui=0
/* localReadsVacancy: latencyLeft 1 */
/* sched write - iter 2 writesPerItem=1 */
s_waitcnt vmcnt(0)                                 // lgkmcnt=-1 vmcnt=0wait for global read before writing to local
v_cvt_f32_f16 v[vgprG2Lpipe0], v[vgprG2LB+6]       // 
v_cmp_u_f32 s[sgprFp16AltNanCheck:sgprFp16AltNanCheck+1], v[vgprG2Lpipe0], v[vgprG2Lpipe0] // check NaN
v_add_u32 v[vgprFp16AltTmp], s[sgprFp16AltOffset], v[vgprG2Lpipe0] // 
v_cndmask_b32 v[vgprG2Lpipe0], v[vgprFp16AltTmp], v[vgprG2Lpipe0], s[sgprFp16AltNanCheck:sgprFp16AltNanCheck+1] // 
v_cvt_f32_f16 v[vgprG2Lpipe1], v[vgprG2LB+6], src0_sel:WORD_1 // 
v_cmp_u_f32 s[sgprFp16AltNanCheck:sgprFp16AltNanCheck+1], v[vgprG2Lpipe1], v[vgprG2Lpipe1] // check NaN
v_add_u32 v[vgprFp16AltTmp], s[sgprFp16AltOffset], v[vgprG2Lpipe1] // 
v_cndmask_b32 v[vgprG2Lpipe1], v[vgprFp16AltTmp], v[vgprG2Lpipe1], s[sgprFp16AltNanCheck:sgprFp16AltNanCheck+1] // 
v_pack_b32_f16 v[vgprG2LB+6], v[vgprG2Lpipe0], v[vgprG2Lpipe1], op_sel:[1,1,0] // 
v_cvt_f32_f16 v[vgprG2Lpipe0], v[vgprG2LB+7]       // 
v_cmp_u_f32 s[sgprFp16AltNanCheck:sgprFp16AltNanCheck+1], v[vgprG2Lpipe0], v[vgprG2Lpipe0] // check NaN
v_add_u32 v[vgprFp16AltTmp], s[sgprFp16AltOffset], v[vgprG2Lpipe0] // 
v_cndmask_b32 v[vgprG2Lpipe0], v[vgprFp16AltTmp], v[vgprG2Lpipe0], s[sgprFp16AltNanCheck:sgprFp16AltNanCheck+1] // 
v_cvt_f32_f16 v[vgprG2Lpipe1], v[vgprG2LB+7], src0_sel:WORD_1 // 
v_cmp_u_f32 s[sgprFp16AltNanCheck:sgprFp16AltNanCheck+1], v[vgprG2Lpipe1], v[vgprG2Lpipe1] // check NaN
v_add_u32 v[vgprFp16AltTmp], s[sgprFp16AltOffset], v[vgprG2Lpipe1] // 
v_cndmask_b32 v[vgprG2Lpipe1], v[vgprFp16AltTmp], v[vgprG2Lpipe1], s[sgprFp16AltNanCheck:sgprFp16AltNanCheck+1] // 
v_pack_b32_f16 v[vgprG2LB+7], v[vgprG2Lpipe0], v[vgprG2Lpipe1], op_sel:[1,1,0] // 
_ds_store_b64 v[vgprLocalWriteAddrB], v[vgprG2LB+6:vgprG2LB+6+1] offset:6144 // lwoB_0_0_1_0 = (0*LSCB) + (1*LSPB)(*MT1J+PAD) = 6144
v_mfma_f32_32x32x8bf16_1k a[48+0:63+0], v[vgprValuB_X2_I0+2+0+0:vgprValuB_X2_I0+2+0+0+1], v[vgprValuA_X2_I0+2+0+0:vgprValuA_X2_I0+2+0+0+1], a[48:63]
/*  mfmaIndex:15  */
/* localReadsVacancy: latencyLeft 7 */
_buffer_load_b64 v[vgprG2LB+6:vgprG2LB+6+1], v[vgprGlobalReadOffsetB+3], s[sgprSrdB:sgprSrdB+3], 0, offen offset:0 // G -> Reg 0_0_1_0
/* sched write - iter 2 writesPerItem=1 */
s_waitcnt vmcnt(0)                                 // lgkmcnt=-1 vmcnt=0wait for global read before writing to local
v_cvt_f32_f16 v[vgprG2Lpipe0], v[vgprG2LB+8]       // 
v_cmp_u_f32 s[sgprFp16AltNanCheck:sgprFp16AltNanCheck+1], v[vgprG2Lpipe0], v[vgprG2Lpipe0] // check NaN
v_add_u32 v[vgprFp16AltTmp], s[sgprFp16AltOffset], v[vgprG2Lpipe0] // 
v_cndmask_b32 v[vgprG2Lpipe0], v[vgprFp16AltTmp], v[vgprG2Lpipe0], s[sgprFp16AltNanCheck:sgprFp16AltNanCheck+1] // 
v_cvt_f32_f16 v[vgprG2Lpipe1], v[vgprG2LB+8], src0_sel:WORD_1 // 
v_cmp_u_f32 s[sgprFp16AltNanCheck:sgprFp16AltNanCheck+1], v[vgprG2Lpipe1], v[vgprG2Lpipe1] // check NaN
v_add_u32 v[vgprFp16AltTmp], s[sgprFp16AltOffset], v[vgprG2Lpipe1] // 
v_cndmask_b32 v[vgprG2Lpipe1], v[vgprFp16AltTmp], v[vgprG2Lpipe1], s[sgprFp16AltNanCheck:sgprFp16AltNanCheck+1] // 
v_pack_b32_f16 v[vgprG2LB+8], v[vgprG2Lpipe0], v[vgprG2Lpipe1], op_sel:[1,1,0] // 
v_cvt_f32_f16 v[vgprG2Lpipe0], v[vgprG2LB+9]       // 
v_cmp_u_f32 s[sgprFp16AltNanCheck:sgprFp16AltNanCheck+1], v[vgprG2Lpipe0], v[vgprG2Lpipe0] // check NaN
v_add_u32 v[vgprFp16AltTmp], s[sgprFp16AltOffset], v[vgprG2Lpipe0] // 
v_cndmask_b32 v[vgprG2Lpipe0], v[vgprFp16AltTmp], v[vgprG2Lpipe0], s[sgprFp16AltNanCheck:sgprFp16AltNanCheck+1] // 
v_cvt_f32_f16 v[vgprG2Lpipe1], v[vgprG2LB+9], src0_sel:WORD_1 // 
v_cmp_u_f32 s[sgprFp16AltNanCheck:sgprFp16AltNanCheck+1], v[vgprG2Lpipe1], v[vgprG2Lpipe1] // check NaN
v_add_u32 v[vgprFp16AltTmp], s[sgprFp16AltOffset], v[vgprG2Lpipe1] // 
v_cndmask_b32 v[vgprG2Lpipe1], v[vgprFp16AltTmp], v[vgprG2Lpipe1], s[sgprFp16AltNanCheck:sgprFp16AltNanCheck+1] // 
v_pack_b32_f16 v[vgprG2LB+9], v[vgprG2Lpipe0], v[vgprG2Lpipe1], op_sel:[1,1,0] // 
_ds_store_b64 v[vgprLocalWriteAddrB], v[vgprG2LB+8:vgprG2LB+8+1] offset:6272 // lwoB_1_0_1_0 = (1*LSCB) + (1*LSPB)(*MT1J+PAD) = 6272
v_mfma_f32_32x32x8bf16_1k a[32+0:47+0], v[vgprValuB_X2_I0+2+0+0:vgprValuB_X2_I0+2+0+0+1], v[vgprValuA_X2_I0+0+0+0:vgprValuA_X2_I0+0+0+0+1], a[32:47]
/*  mfmaIndex:16  */
/* localReadsVacancy: latencyLeft 13 */
_buffer_load_b64 v[vgprG2LB+8:vgprG2LB+8+1], v[vgprGlobalReadOffsetB+4], s[sgprSrdB:sgprSrdB+3], 0, offen offset:0 // G -> Reg 1_0_1_0
v_mfma_f32_32x32x8bf16_1k a[64+0:79+0], v[vgprValuB_X2_I0+4+0+0:vgprValuB_X2_I0+4+0+0+1], v[vgprValuA_X2_I0+0+0+0:vgprValuA_X2_I0+0+0+0+1], a[64:79]
/*  mfmaIndex:17  */
/* localReadsVacancy: latencyLeft 7 */
/* sched write - iter 2 writesPerItem=1 */
s_waitcnt vmcnt(0)                                 // lgkmcnt=-1 vmcnt=0wait for global read before writing to local
v_cvt_f32_f16 v[vgprG2Lpipe0], v[vgprG2LB+10]      // 
v_cmp_u_f32 s[sgprFp16AltNanCheck:sgprFp16AltNanCheck+1], v[vgprG2Lpipe0], v[vgprG2Lpipe0] // check NaN
v_add_u32 v[vgprFp16AltTmp], s[sgprFp16AltOffset], v[vgprG2Lpipe0] // 
v_cndmask_b32 v[vgprG2Lpipe0], v[vgprFp16AltTmp], v[vgprG2Lpipe0], s[sgprFp16AltNanCheck:sgprFp16AltNanCheck+1] // 
v_cvt_f32_f16 v[vgprG2Lpipe1], v[vgprG2LB+10], src0_sel:WORD_1 // 
v_cmp_u_f32 s[sgprFp16AltNanCheck:sgprFp16AltNanCheck+1], v[vgprG2Lpipe1], v[vgprG2Lpipe1] // check NaN
v_add_u32 v[vgprFp16AltTmp], s[sgprFp16AltOffset], v[vgprG2Lpipe1] // 
v_cndmask_b32 v[vgprG2Lpipe1], v[vgprFp16AltTmp], v[vgprG2Lpipe1], s[sgprFp16AltNanCheck:sgprFp16AltNanCheck+1] // 
v_pack_b32_f16 v[vgprG2LB+10], v[vgprG2Lpipe0], v[vgprG2Lpipe1], op_sel:[1,1,0] // 
v_cvt_f32_f16 v[vgprG2Lpipe0], v[vgprG2LB+11]      // 
v_cmp_u_f32 s[sgprFp16AltNanCheck:sgprFp16AltNanCheck+1], v[vgprG2Lpipe0], v[vgprG2Lpipe0] // check NaN
v_add_u32 v[vgprFp16AltTmp], s[sgprFp16AltOffset], v[vgprG2Lpipe0] // 
v_cndmask_b32 v[vgprG2Lpipe0], v[vgprFp16AltTmp], v[vgprG2Lpipe0], s[sgprFp16AltNanCheck:sgprFp16AltNanCheck+1] // 
v_cvt_f32_f16 v[vgprG2Lpipe1], v[vgprG2LB+11], src0_sel:WORD_1 // 
v_cmp_u_f32 s[sgprFp16AltNanCheck:sgprFp16AltNanCheck+1], v[vgprG2Lpipe1], v[vgprG2Lpipe1] // check NaN
v_add_u32 v[vgprFp16AltTmp], s[sgprFp16AltOffset], v[vgprG2Lpipe1] // 
v_cndmask_b32 v[vgprG2Lpipe1], v[vgprFp16AltTmp], v[vgprG2Lpipe1], s[sgprFp16AltNanCheck:sgprFp16AltNanCheck+1] // 
v_pack_b32_f16 v[vgprG2LB+11], v[vgprG2Lpipe0], v[vgprG2Lpipe1], op_sel:[1,1,0] // 
_ds_store_b64 v[vgprLocalWriteAddrB], v[vgprG2LB+10:vgprG2LB+10+1] offset:6400 // lwoB_2_0_1_0 = (2*LSCB) + (1*LSPB)(*MT1J+PAD) = 6400

/* local read swap offsets a */
v_xor_b32 v[vgprLocalReadAddrA], 0x8000, v[vgprLocalReadAddrA] // swap Red Blk

/* local read swap offsets b */
v_xor_b32 v[vgprLocalReadAddrB], 0x8000, v[vgprLocalReadAddrB] // swap Red Blk

/* local read init pointers a */

/* localReadInitPointers */

/* local read init pointers b */

/* localReadInitPointers */
v_mfma_f32_32x32x8bf16_1k a[80+0:95+0], v[vgprValuB_X2_I0+4+0+0:vgprValuB_X2_I0+4+0+0+1], v[vgprValuA_X2_I0+2+0+0:vgprValuA_X2_I0+2+0+0+1], a[80:95]
/* numPrefetchIter=0 */
/* dataAtIterA=1 numReadsIterA=3 skipReadsIterA=1 readsPerIterA=8 */
/* dataAtIterB=1 numReadsIterB=3 skipReadsIterB=1 readsPerIterB=12 */


/* iter 3 (swap and reset local write pointers iteration)  */

/*  grEndMfmaIndex:2, lwStartMfmaIndex:4, lwEndMfmaIndex:18  */
/*  numMfmaForLR:4, barrierMfmaIndex:19, LocalWritePerMfma:0.670 */
/*  mfmaIndex:18  */
_buffer_load_b64 v[vgprG2LB+10:vgprG2LB+10+1], v[vgprGlobalReadOffsetB+5], s[sgprSrdB:sgprSrdB+3], 0, offen offset:0 // G -> Reg 2_0_1_0

/* local write swap offsets a */
v_xor_b32 v[vgprLocalWriteAddrA+0], 0x8000, v[vgprLocalWriteAddrA+0] // swap Red Blk

/* local write swap offsets b */
v_xor_b32 v[vgprLocalWriteAddrB+0], 0x8000, v[vgprLocalWriteAddrB+0] // swap Red Blk
s_waitcnt lgkmcnt(3)                               // lgkmcnt=0 vmcnt=-1wait for prior local read local write old=0, new=3 newLW=3 newLR=0
/* pack scheduling: packAIdx:2, packBIdx:2 */
v_or_b32 v[vgprValuA_X3_I0+0], v[vgprValuA_X3_I0+0], v88 // pack two half Vgpr to one Vgpr
v_or_b32 v[vgprValuA_X3_I0+1], v[vgprValuA_X3_I0+1], v89 // pack two half Vgpr to one Vgpr
v_or_b32 v[vgprValuB_X3_I0+0], v[vgprValuB_X3_I0+0], v92 // pack two half Vgpr to one Vgpr
v_or_b32 v[vgprValuB_X3_I0+1], v[vgprValuB_X3_I0+1], v93 // pack two half Vgpr to one Vgpr
v_or_b32 v[vgprValuA_X3_I0+2], v[vgprValuA_X3_I0+2], v90 // pack two half Vgpr to one Vgpr
v_or_b32 v[vgprValuA_X3_I0+3], v[vgprValuA_X3_I0+3], v91 // pack two half Vgpr to one Vgpr
v_mfma_f32_32x32x8bf16_1k a[0+0:15+0], v[vgprValuB_X3_I0+0+0+0:vgprValuB_X3_I0+0+0+0+1], v[vgprValuA_X3_I0+0+0+0:vgprValuA_X3_I0+0+0+0+1], a[0:15]
/*  mfmaIndex:19  */
s_waitcnt lgkmcnt(0)                               // lgkmcnt=0 vmcnt=-13wait for local write
// Skip force waitcnt0
s_barrier //
/* pack scheduling: packAIdx:4, packBIdx:2 */
v_or_b32 v[vgprValuB_X3_I0+2], v[vgprValuB_X3_I0+2], v94 // pack two half Vgpr to one Vgpr
v_or_b32 v[vgprValuB_X3_I0+3], v[vgprValuB_X3_I0+3], v95 // pack two half Vgpr to one Vgpr
	;; [unrolled: 1-line block ×4, first 2 shown]
v_mfma_f32_32x32x8bf16_1k a[16+0:31+0], v[vgprValuB_X3_I0+0+0+0:vgprValuB_X3_I0+0+0+0+1], v[vgprValuA_X3_I0+2+0+0:vgprValuA_X3_I0+2+0+0+1], a[16:31]
/*  mfmaIndex:20  */
_ds_load_u16 v[vgprValuA_X0_I0+0], v[vgprLocalReadAddrA] offset:0 // L -> Reg lro=0 swapByteOffset=0 ti=64 vIdx=0 rIdx=0 oIdx=0 buffer=0 iui=0
_ds_load_u16_d16_hi v78, v[vgprLocalReadAddrA] offset:256 // L -> Reg lro=0 swapByteOffset=0 ti=64 vIdx=0 rIdx=1 oIdx=0 buffer=0 iui=0
_ds_load_u16 v[vgprValuA_X0_I0+1], v[vgprLocalReadAddrA] offset:512 // L -> Reg lro=0 swapByteOffset=0 ti=64 vIdx=0 rIdx=2 oIdx=0 buffer=0 iui=0
_ds_load_u16_d16_hi v79, v[vgprLocalReadAddrA] offset:768 // L -> Reg lro=0 swapByteOffset=0 ti=64 vIdx=0 rIdx=3 oIdx=0 buffer=0 iui=0
_ds_load_u16 v[vgprValuB_X0_I0+0], v[vgprLocalReadAddrB] offset:0 // L -> Reg lro=0 swapByteOffset=0 ti=64 vIdx=0 rIdx=0 oIdx=0 buffer=0 iui=0
_ds_load_u16_d16_hi v82, v[vgprLocalReadAddrB] offset:384 // L -> Reg lro=0 swapByteOffset=0 ti=64 vIdx=0 rIdx=1 oIdx=0 buffer=0 iui=0
v_mfma_f32_32x32x8bf16_1k a[48+0:63+0], v[vgprValuB_X3_I0+2+0+0:vgprValuB_X3_I0+2+0+0+1], v[vgprValuA_X3_I0+2+0+0:vgprValuA_X3_I0+2+0+0+1], a[48:63]
/*  mfmaIndex:21  */
_ds_load_u16 v[vgprValuB_X0_I0+1], v[vgprLocalReadAddrB] offset:768 // L -> Reg lro=0 swapByteOffset=0 ti=64 vIdx=0 rIdx=2 oIdx=0 buffer=0 iui=0
_ds_load_u16_d16_hi v83, v[vgprLocalReadAddrB] offset:1152 // L -> Reg lro=0 swapByteOffset=0 ti=64 vIdx=0 rIdx=3 oIdx=0 buffer=0 iui=0
_ds_load_u16 v[vgprValuA_X0_I0+2], v[vgprLocalReadAddrA] offset:128 // L -> Reg lro=0 swapByteOffset=0 ti=64 vIdx=1 rIdx=0 oIdx=0 buffer=0 iui=0
_ds_load_u16_d16_hi v80, v[vgprLocalReadAddrA] offset:384 // L -> Reg lro=0 swapByteOffset=0 ti=64 vIdx=1 rIdx=1 oIdx=0 buffer=0 iui=0
_ds_load_u16 v[vgprValuA_X0_I0+3], v[vgprLocalReadAddrA] offset:640 // L -> Reg lro=0 swapByteOffset=0 ti=64 vIdx=1 rIdx=2 oIdx=0 buffer=0 iui=0
_ds_load_u16_d16_hi v81, v[vgprLocalReadAddrA] offset:896 // L -> Reg lro=0 swapByteOffset=0 ti=64 vIdx=1 rIdx=3 oIdx=0 buffer=0 iui=0
v_mfma_f32_32x32x8bf16_1k a[32+0:47+0], v[vgprValuB_X3_I0+2+0+0:vgprValuB_X3_I0+2+0+0+1], v[vgprValuA_X3_I0+0+0+0:vgprValuA_X3_I0+0+0+0+1], a[32:47]
/*  mfmaIndex:22  */
_ds_load_u16 v[vgprValuB_X0_I0+2], v[vgprLocalReadAddrB] offset:128 // L -> Reg lro=0 swapByteOffset=0 ti=64 vIdx=1 rIdx=0 oIdx=0 buffer=0 iui=0
_ds_load_u16_d16_hi v84, v[vgprLocalReadAddrB] offset:512 // L -> Reg lro=0 swapByteOffset=0 ti=64 vIdx=1 rIdx=1 oIdx=0 buffer=0 iui=0
_ds_load_u16 v[vgprValuB_X0_I0+3], v[vgprLocalReadAddrB] offset:896 // L -> Reg lro=0 swapByteOffset=0 ti=64 vIdx=1 rIdx=2 oIdx=0 buffer=0 iui=0
_ds_load_u16_d16_hi v85, v[vgprLocalReadAddrB] offset:1280 // L -> Reg lro=0 swapByteOffset=0 ti=64 vIdx=1 rIdx=3 oIdx=0 buffer=0 iui=0
	;; [unrolled: 2-line block ×3, first 2 shown]
v_mfma_f32_32x32x8bf16_1k a[64+0:79+0], v[vgprValuB_X3_I0+4+0+0:vgprValuB_X3_I0+4+0+0+1], v[vgprValuA_X3_I0+0+0+0:vgprValuA_X3_I0+0+0+0+1], a[64:79]
/*  mfmaIndex:23  */
_ds_load_u16 v[vgprValuB_X0_I0+5], v[vgprLocalReadAddrB] offset:1024 // L -> Reg lro=0 swapByteOffset=0 ti=64 vIdx=2 rIdx=2 oIdx=0 buffer=0 iui=0
_ds_load_u16_d16_hi v87, v[vgprLocalReadAddrB] offset:1408 // L -> Reg lro=0 swapByteOffset=0 ti=64 vIdx=2 rIdx=3 oIdx=0 buffer=0 iui=0
v_mfma_f32_32x32x8bf16_1k a[80+0:95+0], v[vgprValuB_X3_I0+4+0+0:vgprValuB_X3_I0+4+0+0+1], v[vgprValuA_X3_I0+2+0+0:vgprValuA_X3_I0+2+0+0+1], a[80:95]
/* numPrefetchIter=1 */
/* dataAtIterA=2 numReadsIterA=3 skipReadsIterA=1 readsPerIterA=8 */
/* dataAtIterB=2 numReadsIterB=3 skipReadsIterB=1 readsPerIterB=12 */


/******************************************/
/* Unrolled Loop - End                    */
/******************************************/


/* closeLoop loopL finalLoop=1 tailLoop=0 */
s_sub_u32 s[sgprLoopCounterL], s[sgprLoopCounterL], 1 // dec counterL
s_cmp_eq_i32 s[sgprLoopCounterL], 0x2              // counterL==2
s_cbranch_scc0 LoopBeginL_1                        // restart LoopL
LoopEndL_2:


/* Before NLL: Check VGPR.checkin for INT8 LW */


/******************************************/
/* Ord. NoGlobalLoadLoop - Begin                                      */
/******************************************/


	;; [unrolled: 1-line block ×3, first 2 shown]
/* iter 0 */

/*  grEndMfmaIndex:2, lwStartMfmaIndex:4, lwEndMfmaIndex:18  */
/*  numMfmaForLR:4, barrierMfmaIndex:19, LocalWritePerMfma:0.670 */
/*  mfmaIndex:0  */
s_waitcnt lgkmcnt(0)                               // lgkmcnt=0 vmcnt=-1wait for prior local read local write old=0, new=0 newLW=0 newLR=0
/* pack scheduling: packAIdx:2, packBIdx:2 */
v_or_b32 v[vgprValuA_X0_I0+0], v[vgprValuA_X0_I0+0], v78 // pack two half Vgpr to one Vgpr
v_or_b32 v[vgprValuA_X0_I0+1], v[vgprValuA_X0_I0+1], v79 // pack two half Vgpr to one Vgpr
v_or_b32 v[vgprValuB_X0_I0+0], v[vgprValuB_X0_I0+0], v82 // pack two half Vgpr to one Vgpr
v_or_b32 v[vgprValuB_X0_I0+1], v[vgprValuB_X0_I0+1], v83 // pack two half Vgpr to one Vgpr
v_or_b32 v[vgprValuA_X0_I0+2], v[vgprValuA_X0_I0+2], v80 // pack two half Vgpr to one Vgpr
v_or_b32 v[vgprValuA_X0_I0+3], v[vgprValuA_X0_I0+3], v81 // pack two half Vgpr to one Vgpr
v_mfma_f32_32x32x8bf16_1k a[0+0:15+0], v[vgprValuB_X0_I0+0+0+0:vgprValuB_X0_I0+0+0+0+1], v[vgprValuA_X0_I0+0+0+0:vgprValuA_X0_I0+0+0+0+1], a[0:15]
/*  mfmaIndex:1  */
_ds_load_u16 v[vgprValuA_X1_I0+0], v[vgprLocalReadAddrA] offset:2048 // L -> Reg lro=1024 swapByteOffset=0 ti=64 vIdx=0 rIdx=0 oIdx=0 buffer=1 iui=0
_ds_load_u16_d16_hi v88, v[vgprLocalReadAddrA] offset:2304 // L -> Reg lro=1024 swapByteOffset=0 ti=64 vIdx=0 rIdx=1 oIdx=0 buffer=1 iui=0
_ds_load_u16 v[vgprValuA_X1_I0+1], v[vgprLocalReadAddrA] offset:2560 // L -> Reg lro=1024 swapByteOffset=0 ti=64 vIdx=0 rIdx=2 oIdx=0 buffer=1 iui=0
_ds_load_u16_d16_hi v89, v[vgprLocalReadAddrA] offset:2816 // L -> Reg lro=1024 swapByteOffset=0 ti=64 vIdx=0 rIdx=3 oIdx=0 buffer=1 iui=0
_ds_load_u16 v[vgprValuB_X1_I0+0], v[vgprLocalReadAddrB] offset:3072 // L -> Reg lro=1536 swapByteOffset=0 ti=64 vIdx=0 rIdx=0 oIdx=0 buffer=1 iui=0
_ds_load_u16_d16_hi v92, v[vgprLocalReadAddrB] offset:3456 // L -> Reg lro=1536 swapByteOffset=0 ti=64 vIdx=0 rIdx=1 oIdx=0 buffer=1 iui=0

/* global read inc A loopL */
s_add_u32 s[sgprSrdA+0], s[sgprSrdA+0], s[sgprGlobalReadIncsA+0] // gra SRD += inc(lower)
s_addc_u32  s[sgprSrdA+1], s[sgprSrdA+1], 0        // gra SRD += inc(upper)
s_sub_u32 s[sgprShadowLimitA+0], s[sgprShadowLimitA+0], s[sgprGlobalReadIncsA+0] // limit -= inc)
s_subb_u32 s[sgprShadowLimitA+1], s[sgprShadowLimitA+1], 0 // limit -= inc)
s_cmp_eq_u32 s[sgprShadowLimitA+1], 0              // are we within 2^32?
s_cmov_b32 s[sgprSrdA+2], s[sgprShadowLimitA+0]    // Move shadow to real if we are within 2^32

/* global read inc B loopL */
s_add_u32 s[sgprSrdB+0], s[sgprSrdB+0], s[sgprGlobalReadIncsB+0] // gra SRD += inc(lower)
/* pack scheduling: packAIdx:4, packBIdx:2 */
v_or_b32 v[vgprValuB_X0_I0+2], v[vgprValuB_X0_I0+2], v84 // pack two half Vgpr to one Vgpr
v_or_b32 v[vgprValuB_X0_I0+3], v[vgprValuB_X0_I0+3], v85 // pack two half Vgpr to one Vgpr
	;; [unrolled: 1-line block ×4, first 2 shown]
v_mfma_f32_32x32x8bf16_1k a[16+0:31+0], v[vgprValuB_X0_I0+0+0+0:vgprValuB_X0_I0+0+0+0+1], v[vgprValuA_X0_I0+2+0+0:vgprValuA_X0_I0+2+0+0+1], a[16:31]
/*  mfmaIndex:2  */
_ds_load_u16 v[vgprValuB_X1_I0+1], v[vgprLocalReadAddrB] offset:3840 // L -> Reg lro=1536 swapByteOffset=0 ti=64 vIdx=0 rIdx=2 oIdx=0 buffer=1 iui=0
_ds_load_u16_d16_hi v93, v[vgprLocalReadAddrB] offset:4224 // L -> Reg lro=1536 swapByteOffset=0 ti=64 vIdx=0 rIdx=3 oIdx=0 buffer=1 iui=0
_ds_load_u16 v[vgprValuA_X1_I0+2], v[vgprLocalReadAddrA] offset:2176 // L -> Reg lro=1024 swapByteOffset=0 ti=64 vIdx=1 rIdx=0 oIdx=0 buffer=1 iui=0
_ds_load_u16_d16_hi v90, v[vgprLocalReadAddrA] offset:2432 // L -> Reg lro=1024 swapByteOffset=0 ti=64 vIdx=1 rIdx=1 oIdx=0 buffer=1 iui=0
_ds_load_u16 v[vgprValuA_X1_I0+3], v[vgprLocalReadAddrA] offset:2688 // L -> Reg lro=1024 swapByteOffset=0 ti=64 vIdx=1 rIdx=2 oIdx=0 buffer=1 iui=0
_ds_load_u16_d16_hi v91, v[vgprLocalReadAddrA] offset:2944 // L -> Reg lro=1024 swapByteOffset=0 ti=64 vIdx=1 rIdx=3 oIdx=0 buffer=1 iui=0
s_addc_u32  s[sgprSrdB+1], s[sgprSrdB+1], 0        // gra SRD += inc(upper)
s_sub_u32 s[sgprShadowLimitB+0], s[sgprShadowLimitB+0], s[sgprGlobalReadIncsB+0] // limit -= inc)
s_subb_u32 s[sgprShadowLimitB+1], s[sgprShadowLimitB+1], 0 // limit -= inc)
s_cmp_eq_u32 s[sgprShadowLimitB+1], 0              // are we within 2^32?
s_cmov_b32 s[sgprSrdB+2], s[sgprShadowLimitB+0]    // Move shadow to real if we are within 2^32
v_mfma_f32_32x32x8bf16_1k a[48+0:63+0], v[vgprValuB_X0_I0+2+0+0:vgprValuB_X0_I0+2+0+0+1], v[vgprValuA_X0_I0+2+0+0:vgprValuA_X0_I0+2+0+0+1], a[48:63]
/*  mfmaIndex:3  */
_ds_load_u16 v[vgprValuB_X1_I0+2], v[vgprLocalReadAddrB] offset:3200 // L -> Reg lro=1536 swapByteOffset=0 ti=64 vIdx=1 rIdx=0 oIdx=0 buffer=1 iui=0
_ds_load_u16_d16_hi v94, v[vgprLocalReadAddrB] offset:3584 // L -> Reg lro=1536 swapByteOffset=0 ti=64 vIdx=1 rIdx=1 oIdx=0 buffer=1 iui=0
_ds_load_u16 v[vgprValuB_X1_I0+3], v[vgprLocalReadAddrB] offset:3968 // L -> Reg lro=1536 swapByteOffset=0 ti=64 vIdx=1 rIdx=2 oIdx=0 buffer=1 iui=0
_ds_load_u16_d16_hi v95, v[vgprLocalReadAddrB] offset:4352 // L -> Reg lro=1536 swapByteOffset=0 ti=64 vIdx=1 rIdx=3 oIdx=0 buffer=1 iui=0
	;; [unrolled: 2-line block ×3, first 2 shown]
v_mfma_f32_32x32x8bf16_1k a[32+0:47+0], v[vgprValuB_X0_I0+2+0+0:vgprValuB_X0_I0+2+0+0+1], v[vgprValuA_X0_I0+0+0+0:vgprValuA_X0_I0+0+0+0+1], a[32:47]
/*  mfmaIndex:4  */
_ds_load_u16 v[vgprValuB_X1_I0+5], v[vgprLocalReadAddrB] offset:4096 // L -> Reg lro=1536 swapByteOffset=0 ti=64 vIdx=2 rIdx=2 oIdx=0 buffer=1 iui=0
_ds_load_u16_d16_hi v97, v[vgprLocalReadAddrB] offset:4480 // L -> Reg lro=1536 swapByteOffset=0 ti=64 vIdx=2 rIdx=3 oIdx=0 buffer=1 iui=0
/* localReadsVacancy: latencyLeft 3 */
_ds_load_u16 v[vgprValuA_X2_I0+0], v[vgprLocalReadAddrA] offset:4096 // L -> Reg lro=2048 swapByteOffset=0 ti=64 vIdx=0 rIdx=0 oIdx=0 buffer=2 iui=0
/* sched write - iter 0 writesPerItem=1 */
s_waitcnt vmcnt(0)                                 // lgkmcnt=-1 vmcnt=0wait for global read before writing to local
v_cvt_f32_f16 v[vgprG2Lpipe0], v[vgprG2LA+0]       // 
v_cmp_u_f32 s[sgprFp16AltNanCheck:sgprFp16AltNanCheck+1], v[vgprG2Lpipe0], v[vgprG2Lpipe0] // check NaN
v_add_u32 v[vgprFp16AltTmp], s[sgprFp16AltOffset], v[vgprG2Lpipe0] // 
v_cndmask_b32 v[vgprG2Lpipe0], v[vgprFp16AltTmp], v[vgprG2Lpipe0], s[sgprFp16AltNanCheck:sgprFp16AltNanCheck+1] // 
v_cvt_f32_f16 v[vgprG2Lpipe1], v[vgprG2LA+0], src0_sel:WORD_1 // 
v_cmp_u_f32 s[sgprFp16AltNanCheck:sgprFp16AltNanCheck+1], v[vgprG2Lpipe1], v[vgprG2Lpipe1] // check NaN
v_add_u32 v[vgprFp16AltTmp], s[sgprFp16AltOffset], v[vgprG2Lpipe1] // 
v_cndmask_b32 v[vgprG2Lpipe1], v[vgprFp16AltTmp], v[vgprG2Lpipe1], s[sgprFp16AltNanCheck:sgprFp16AltNanCheck+1] // 
v_pack_b32_f16 v[vgprG2LA+0], v[vgprG2Lpipe0], v[vgprG2Lpipe1], op_sel:[1,1,0] // 
v_cvt_f32_f16 v[vgprG2Lpipe0], v[vgprG2LA+1]       // 
v_cmp_u_f32 s[sgprFp16AltNanCheck:sgprFp16AltNanCheck+1], v[vgprG2Lpipe0], v[vgprG2Lpipe0] // check NaN
v_add_u32 v[vgprFp16AltTmp], s[sgprFp16AltOffset], v[vgprG2Lpipe0] // 
v_cndmask_b32 v[vgprG2Lpipe0], v[vgprFp16AltTmp], v[vgprG2Lpipe0], s[sgprFp16AltNanCheck:sgprFp16AltNanCheck+1] // 
v_cvt_f32_f16 v[vgprG2Lpipe1], v[vgprG2LA+1], src0_sel:WORD_1 // 
v_cmp_u_f32 s[sgprFp16AltNanCheck:sgprFp16AltNanCheck+1], v[vgprG2Lpipe1], v[vgprG2Lpipe1] // check NaN
v_add_u32 v[vgprFp16AltTmp], s[sgprFp16AltOffset], v[vgprG2Lpipe1] // 
v_cndmask_b32 v[vgprG2Lpipe1], v[vgprFp16AltTmp], v[vgprG2Lpipe1], s[sgprFp16AltNanCheck:sgprFp16AltNanCheck+1] // 
v_pack_b32_f16 v[vgprG2LA+1], v[vgprG2Lpipe0], v[vgprG2Lpipe1], op_sel:[1,1,0] // 
_ds_store_b64 v[vgprLocalWriteAddrA], v[vgprG2LA+0:vgprG2LA+0+1] offset:0 // lwoA_0_0_0_0 = (0*LSCA) + (0*LSPA)(*MT0I+PAD) = 0
v_mfma_f32_32x32x8bf16_1k a[64+0:79+0], v[vgprValuB_X0_I0+4+0+0:vgprValuB_X0_I0+4+0+0+1], v[vgprValuA_X0_I0+0+0+0:vgprValuA_X0_I0+0+0+0+1], a[64:79]
/*  mfmaIndex:5  */
/* localReadsVacancy: latencyLeft 7 */
_ds_load_u16 v[vgprValuA_X2_I0+1], v[vgprLocalReadAddrA] offset:4608 // L -> Reg lro=2048 swapByteOffset=0 ti=64 vIdx=0 rIdx=2 oIdx=0 buffer=2 iui=0
_ds_load_u16 v[vgprValuB_X2_I0+0], v[vgprLocalReadAddrB] offset:6144 // L -> Reg lro=3072 swapByteOffset=0 ti=64 vIdx=0 rIdx=0 oIdx=0 buffer=2 iui=0
_ds_load_u16 v[vgprValuB_X2_I0+1], v[vgprLocalReadAddrB] offset:6912 // L -> Reg lro=3072 swapByteOffset=0 ti=64 vIdx=0 rIdx=2 oIdx=0 buffer=2 iui=0
/* sched write - iter 0 writesPerItem=1 */
s_waitcnt vmcnt(0)                                 // lgkmcnt=-1 vmcnt=0wait for global read before writing to local
v_cvt_f32_f16 v[vgprG2Lpipe0], v[vgprG2LA+2]       // 
v_cmp_u_f32 s[sgprFp16AltNanCheck:sgprFp16AltNanCheck+1], v[vgprG2Lpipe0], v[vgprG2Lpipe0] // check NaN
v_add_u32 v[vgprFp16AltTmp], s[sgprFp16AltOffset], v[vgprG2Lpipe0] // 
v_cndmask_b32 v[vgprG2Lpipe0], v[vgprFp16AltTmp], v[vgprG2Lpipe0], s[sgprFp16AltNanCheck:sgprFp16AltNanCheck+1] // 
v_cvt_f32_f16 v[vgprG2Lpipe1], v[vgprG2LA+2], src0_sel:WORD_1 // 
v_cmp_u_f32 s[sgprFp16AltNanCheck:sgprFp16AltNanCheck+1], v[vgprG2Lpipe1], v[vgprG2Lpipe1] // check NaN
v_add_u32 v[vgprFp16AltTmp], s[sgprFp16AltOffset], v[vgprG2Lpipe1] // 
v_cndmask_b32 v[vgprG2Lpipe1], v[vgprFp16AltTmp], v[vgprG2Lpipe1], s[sgprFp16AltNanCheck:sgprFp16AltNanCheck+1] // 
v_pack_b32_f16 v[vgprG2LA+2], v[vgprG2Lpipe0], v[vgprG2Lpipe1], op_sel:[1,1,0] // 
v_cvt_f32_f16 v[vgprG2Lpipe0], v[vgprG2LA+3]       // 
v_cmp_u_f32 s[sgprFp16AltNanCheck:sgprFp16AltNanCheck+1], v[vgprG2Lpipe0], v[vgprG2Lpipe0] // check NaN
v_add_u32 v[vgprFp16AltTmp], s[sgprFp16AltOffset], v[vgprG2Lpipe0] // 
v_cndmask_b32 v[vgprG2Lpipe0], v[vgprFp16AltTmp], v[vgprG2Lpipe0], s[sgprFp16AltNanCheck:sgprFp16AltNanCheck+1] // 
v_cvt_f32_f16 v[vgprG2Lpipe1], v[vgprG2LA+3], src0_sel:WORD_1 // 
v_cmp_u_f32 s[sgprFp16AltNanCheck:sgprFp16AltNanCheck+1], v[vgprG2Lpipe1], v[vgprG2Lpipe1] // check NaN
v_add_u32 v[vgprFp16AltTmp], s[sgprFp16AltOffset], v[vgprG2Lpipe1] // 
v_cndmask_b32 v[vgprG2Lpipe1], v[vgprFp16AltTmp], v[vgprG2Lpipe1], s[sgprFp16AltNanCheck:sgprFp16AltNanCheck+1] // 
v_pack_b32_f16 v[vgprG2LA+3], v[vgprG2Lpipe0], v[vgprG2Lpipe1], op_sel:[1,1,0] // 
_ds_store_b64 v[vgprLocalWriteAddrA], v[vgprG2LA+2:vgprG2LA+2+1] offset:2048 // lwoA_0_0_1_0 = (0*LSCA) + (1*LSPA)(*MT0I+PAD) = 2048
v_mfma_f32_32x32x8bf16_1k a[80+0:95+0], v[vgprValuB_X0_I0+4+0+0:vgprValuB_X0_I0+4+0+0+1], v[vgprValuA_X0_I0+2+0+0:vgprValuA_X0_I0+2+0+0+1], a[80:95]
/* numPrefetchIter=0 */
/* dataAtIterA=-1 numReadsIterA=1 skipReadsIterA=1 readsPerIterA=8 */
/* dataAtIterB=-1 numReadsIterB=1 skipReadsIterB=1 readsPerIterB=12 */


/* iter 1 */

/*  grEndMfmaIndex:2, lwStartMfmaIndex:4, lwEndMfmaIndex:18  */
/*  numMfmaForLR:4, barrierMfmaIndex:19, LocalWritePerMfma:0.670 */
/*  mfmaIndex:6  */
_ds_load_u16_d16_hi v78, v[vgprLocalReadAddrA] offset:4352 // L -> Reg lro=2048 swapByteOffset=0 ti=64 vIdx=0 rIdx=1 oIdx=0 buffer=2 iui=0
_ds_load_u16_d16_hi v79, v[vgprLocalReadAddrA] offset:4864 // L -> Reg lro=2048 swapByteOffset=0 ti=64 vIdx=0 rIdx=3 oIdx=0 buffer=2 iui=0
_ds_load_u16_d16_hi v82, v[vgprLocalReadAddrB] offset:6528 // L -> Reg lro=3072 swapByteOffset=0 ti=64 vIdx=0 rIdx=1 oIdx=0 buffer=2 iui=0
/* sched write - iter 1 writesPerItem=1 */
s_waitcnt vmcnt(0)                                 // lgkmcnt=-1 vmcnt=0wait for global read before writing to local
v_cvt_f32_f16 v[vgprG2Lpipe0], v[vgprG2LA+4]       // 
v_cmp_u_f32 s[sgprFp16AltNanCheck:sgprFp16AltNanCheck+1], v[vgprG2Lpipe0], v[vgprG2Lpipe0] // check NaN
v_add_u32 v[vgprFp16AltTmp], s[sgprFp16AltOffset], v[vgprG2Lpipe0] // 
v_cndmask_b32 v[vgprG2Lpipe0], v[vgprFp16AltTmp], v[vgprG2Lpipe0], s[sgprFp16AltNanCheck:sgprFp16AltNanCheck+1] // 
v_cvt_f32_f16 v[vgprG2Lpipe1], v[vgprG2LA+4], src0_sel:WORD_1 // 
v_cmp_u_f32 s[sgprFp16AltNanCheck:sgprFp16AltNanCheck+1], v[vgprG2Lpipe1], v[vgprG2Lpipe1] // check NaN
v_add_u32 v[vgprFp16AltTmp], s[sgprFp16AltOffset], v[vgprG2Lpipe1] // 
v_cndmask_b32 v[vgprG2Lpipe1], v[vgprFp16AltTmp], v[vgprG2Lpipe1], s[sgprFp16AltNanCheck:sgprFp16AltNanCheck+1] // 
v_pack_b32_f16 v[vgprG2LA+4], v[vgprG2Lpipe0], v[vgprG2Lpipe1], op_sel:[1,1,0] // 
v_cvt_f32_f16 v[vgprG2Lpipe0], v[vgprG2LA+5]       // 
v_cmp_u_f32 s[sgprFp16AltNanCheck:sgprFp16AltNanCheck+1], v[vgprG2Lpipe0], v[vgprG2Lpipe0] // check NaN
v_add_u32 v[vgprFp16AltTmp], s[sgprFp16AltOffset], v[vgprG2Lpipe0] // 
v_cndmask_b32 v[vgprG2Lpipe0], v[vgprFp16AltTmp], v[vgprG2Lpipe0], s[sgprFp16AltNanCheck:sgprFp16AltNanCheck+1] // 
v_cvt_f32_f16 v[vgprG2Lpipe1], v[vgprG2LA+5], src0_sel:WORD_1 // 
v_cmp_u_f32 s[sgprFp16AltNanCheck:sgprFp16AltNanCheck+1], v[vgprG2Lpipe1], v[vgprG2Lpipe1] // check NaN
v_add_u32 v[vgprFp16AltTmp], s[sgprFp16AltOffset], v[vgprG2Lpipe1] // 
v_cndmask_b32 v[vgprG2Lpipe1], v[vgprFp16AltTmp], v[vgprG2Lpipe1], s[sgprFp16AltNanCheck:sgprFp16AltNanCheck+1] // 
v_pack_b32_f16 v[vgprG2LA+5], v[vgprG2Lpipe0], v[vgprG2Lpipe1], op_sel:[1,1,0] // 
_ds_store_b64 v[vgprLocalWriteAddrA], v[vgprG2LA+4:vgprG2LA+4+1] offset:4096 // lwoA_0_0_2_0 = (0*LSCA) + (2*LSPA)(*MT0I+PAD) = 4096
s_waitcnt lgkmcnt(10)                              // lgkmcnt=0 vmcnt=-1wait for prior local read local write old=4, new=10 newLW=3 newLR=3
/* pack scheduling: packAIdx:2, packBIdx:2 */
v_or_b32 v[vgprValuA_X1_I0+0], v[vgprValuA_X1_I0+0], v88 // pack two half Vgpr to one Vgpr
v_or_b32 v[vgprValuA_X1_I0+1], v[vgprValuA_X1_I0+1], v89 // pack two half Vgpr to one Vgpr
v_or_b32 v[vgprValuB_X1_I0+0], v[vgprValuB_X1_I0+0], v92 // pack two half Vgpr to one Vgpr
v_or_b32 v[vgprValuB_X1_I0+1], v[vgprValuB_X1_I0+1], v93 // pack two half Vgpr to one Vgpr
v_or_b32 v[vgprValuA_X1_I0+2], v[vgprValuA_X1_I0+2], v90 // pack two half Vgpr to one Vgpr
v_or_b32 v[vgprValuA_X1_I0+3], v[vgprValuA_X1_I0+3], v91 // pack two half Vgpr to one Vgpr
v_mfma_f32_32x32x8bf16_1k a[0+0:15+0], v[vgprValuB_X1_I0+0+0+0:vgprValuB_X1_I0+0+0+0+1], v[vgprValuA_X1_I0+0+0+0:vgprValuA_X1_I0+0+0+0+1], a[0:15]
/*  mfmaIndex:7  */
_ds_load_u16_d16_hi v83, v[vgprLocalReadAddrB] offset:7296 // L -> Reg lro=3072 swapByteOffset=0 ti=64 vIdx=0 rIdx=3 oIdx=0 buffer=2 iui=0
_ds_load_u16 v[vgprValuA_X2_I0+2], v[vgprLocalReadAddrA] offset:4224 // L -> Reg lro=2048 swapByteOffset=0 ti=64 vIdx=1 rIdx=0 oIdx=0 buffer=2 iui=0
_ds_load_u16_d16_hi v80, v[vgprLocalReadAddrA] offset:4480 // L -> Reg lro=2048 swapByteOffset=0 ti=64 vIdx=1 rIdx=1 oIdx=0 buffer=2 iui=0
_ds_load_u16 v[vgprValuA_X2_I0+3], v[vgprLocalReadAddrA] offset:4736 // L -> Reg lro=2048 swapByteOffset=0 ti=64 vIdx=1 rIdx=2 oIdx=0 buffer=2 iui=0
_ds_load_u16_d16_hi v81, v[vgprLocalReadAddrA] offset:4992 // L -> Reg lro=2048 swapByteOffset=0 ti=64 vIdx=1 rIdx=3 oIdx=0 buffer=2 iui=0
_ds_load_u16 v[vgprValuB_X2_I0+2], v[vgprLocalReadAddrB] offset:6272 // L -> Reg lro=3072 swapByteOffset=0 ti=64 vIdx=1 rIdx=0 oIdx=0 buffer=2 iui=0
/* pack scheduling: packAIdx:4, packBIdx:2 */
v_or_b32 v[vgprValuB_X1_I0+2], v[vgprValuB_X1_I0+2], v94 // pack two half Vgpr to one Vgpr
v_or_b32 v[vgprValuB_X1_I0+3], v[vgprValuB_X1_I0+3], v95 // pack two half Vgpr to one Vgpr
	;; [unrolled: 1-line block ×4, first 2 shown]
v_mfma_f32_32x32x8bf16_1k a[16+0:31+0], v[vgprValuB_X1_I0+0+0+0:vgprValuB_X1_I0+0+0+0+1], v[vgprValuA_X1_I0+2+0+0:vgprValuA_X1_I0+2+0+0+1], a[16:31]
/*  mfmaIndex:8  */
_ds_load_u16_d16_hi v84, v[vgprLocalReadAddrB] offset:6656 // L -> Reg lro=3072 swapByteOffset=0 ti=64 vIdx=1 rIdx=1 oIdx=0 buffer=2 iui=0
_ds_load_u16 v[vgprValuB_X2_I0+3], v[vgprLocalReadAddrB] offset:7040 // L -> Reg lro=3072 swapByteOffset=0 ti=64 vIdx=1 rIdx=2 oIdx=0 buffer=2 iui=0
_ds_load_u16_d16_hi v85, v[vgprLocalReadAddrB] offset:7424 // L -> Reg lro=3072 swapByteOffset=0 ti=64 vIdx=1 rIdx=3 oIdx=0 buffer=2 iui=0
/* sched write - iter 1 writesPerItem=1 */
s_waitcnt vmcnt(0)                                 // lgkmcnt=-1 vmcnt=0wait for global read before writing to local
v_cvt_f32_f16 v[vgprG2Lpipe0], v[vgprG2LA+6]       // 
v_cmp_u_f32 s[sgprFp16AltNanCheck:sgprFp16AltNanCheck+1], v[vgprG2Lpipe0], v[vgprG2Lpipe0] // check NaN
v_add_u32 v[vgprFp16AltTmp], s[sgprFp16AltOffset], v[vgprG2Lpipe0] // 
v_cndmask_b32 v[vgprG2Lpipe0], v[vgprFp16AltTmp], v[vgprG2Lpipe0], s[sgprFp16AltNanCheck:sgprFp16AltNanCheck+1] // 
v_cvt_f32_f16 v[vgprG2Lpipe1], v[vgprG2LA+6], src0_sel:WORD_1 // 
v_cmp_u_f32 s[sgprFp16AltNanCheck:sgprFp16AltNanCheck+1], v[vgprG2Lpipe1], v[vgprG2Lpipe1] // check NaN
v_add_u32 v[vgprFp16AltTmp], s[sgprFp16AltOffset], v[vgprG2Lpipe1] // 
v_cndmask_b32 v[vgprG2Lpipe1], v[vgprFp16AltTmp], v[vgprG2Lpipe1], s[sgprFp16AltNanCheck:sgprFp16AltNanCheck+1] // 
v_pack_b32_f16 v[vgprG2LA+6], v[vgprG2Lpipe0], v[vgprG2Lpipe1], op_sel:[1,1,0] // 
v_cvt_f32_f16 v[vgprG2Lpipe0], v[vgprG2LA+7]       // 
v_cmp_u_f32 s[sgprFp16AltNanCheck:sgprFp16AltNanCheck+1], v[vgprG2Lpipe0], v[vgprG2Lpipe0] // check NaN
v_add_u32 v[vgprFp16AltTmp], s[sgprFp16AltOffset], v[vgprG2Lpipe0] // 
v_cndmask_b32 v[vgprG2Lpipe0], v[vgprFp16AltTmp], v[vgprG2Lpipe0], s[sgprFp16AltNanCheck:sgprFp16AltNanCheck+1] // 
v_cvt_f32_f16 v[vgprG2Lpipe1], v[vgprG2LA+7], src0_sel:WORD_1 // 
v_cmp_u_f32 s[sgprFp16AltNanCheck:sgprFp16AltNanCheck+1], v[vgprG2Lpipe1], v[vgprG2Lpipe1] // check NaN
v_add_u32 v[vgprFp16AltTmp], s[sgprFp16AltOffset], v[vgprG2Lpipe1] // 
v_cndmask_b32 v[vgprG2Lpipe1], v[vgprFp16AltTmp], v[vgprG2Lpipe1], s[sgprFp16AltNanCheck:sgprFp16AltNanCheck+1] // 
v_pack_b32_f16 v[vgprG2LA+7], v[vgprG2Lpipe0], v[vgprG2Lpipe1], op_sel:[1,1,0] // 
_ds_store_b64 v[vgprLocalWriteAddrA], v[vgprG2LA+6:vgprG2LA+6+1] offset:6144 // lwoA_0_0_3_0 = (0*LSCA) + (3*LSPA)(*MT0I+PAD) = 6144
v_mfma_f32_32x32x8bf16_1k a[48+0:63+0], v[vgprValuB_X1_I0+2+0+0:vgprValuB_X1_I0+2+0+0+1], v[vgprValuA_X1_I0+2+0+0:vgprValuA_X1_I0+2+0+0+1], a[48:63]
/*  mfmaIndex:9  */
_ds_load_u16 v[vgprValuB_X2_I0+4], v[vgprLocalReadAddrB] offset:6400 // L -> Reg lro=3072 swapByteOffset=0 ti=64 vIdx=2 rIdx=0 oIdx=0 buffer=2 iui=0
_ds_load_u16_d16_hi v86, v[vgprLocalReadAddrB] offset:6784 // L -> Reg lro=3072 swapByteOffset=0 ti=64 vIdx=2 rIdx=1 oIdx=0 buffer=2 iui=0
_ds_load_u16 v[vgprValuB_X2_I0+5], v[vgprLocalReadAddrB] offset:7168 // L -> Reg lro=3072 swapByteOffset=0 ti=64 vIdx=2 rIdx=2 oIdx=0 buffer=2 iui=0
/* sched write - iter 1 writesPerItem=1 */
s_waitcnt vmcnt(0)                                 // lgkmcnt=-1 vmcnt=0wait for global read before writing to local
v_cvt_f32_f16 v[vgprG2Lpipe0], v[vgprG2LB+0]       // 
v_cmp_u_f32 s[sgprFp16AltNanCheck:sgprFp16AltNanCheck+1], v[vgprG2Lpipe0], v[vgprG2Lpipe0] // check NaN
v_add_u32 v[vgprFp16AltTmp], s[sgprFp16AltOffset], v[vgprG2Lpipe0] // 
v_cndmask_b32 v[vgprG2Lpipe0], v[vgprFp16AltTmp], v[vgprG2Lpipe0], s[sgprFp16AltNanCheck:sgprFp16AltNanCheck+1] // 
v_cvt_f32_f16 v[vgprG2Lpipe1], v[vgprG2LB+0], src0_sel:WORD_1 // 
v_cmp_u_f32 s[sgprFp16AltNanCheck:sgprFp16AltNanCheck+1], v[vgprG2Lpipe1], v[vgprG2Lpipe1] // check NaN
v_add_u32 v[vgprFp16AltTmp], s[sgprFp16AltOffset], v[vgprG2Lpipe1] // 
v_cndmask_b32 v[vgprG2Lpipe1], v[vgprFp16AltTmp], v[vgprG2Lpipe1], s[sgprFp16AltNanCheck:sgprFp16AltNanCheck+1] // 
v_pack_b32_f16 v[vgprG2LB+0], v[vgprG2Lpipe0], v[vgprG2Lpipe1], op_sel:[1,1,0] // 
v_cvt_f32_f16 v[vgprG2Lpipe0], v[vgprG2LB+1]       // 
v_cmp_u_f32 s[sgprFp16AltNanCheck:sgprFp16AltNanCheck+1], v[vgprG2Lpipe0], v[vgprG2Lpipe0] // check NaN
v_add_u32 v[vgprFp16AltTmp], s[sgprFp16AltOffset], v[vgprG2Lpipe0] // 
v_cndmask_b32 v[vgprG2Lpipe0], v[vgprFp16AltTmp], v[vgprG2Lpipe0], s[sgprFp16AltNanCheck:sgprFp16AltNanCheck+1] // 
v_cvt_f32_f16 v[vgprG2Lpipe1], v[vgprG2LB+1], src0_sel:WORD_1 // 
v_cmp_u_f32 s[sgprFp16AltNanCheck:sgprFp16AltNanCheck+1], v[vgprG2Lpipe1], v[vgprG2Lpipe1] // check NaN
v_add_u32 v[vgprFp16AltTmp], s[sgprFp16AltOffset], v[vgprG2Lpipe1] // 
v_cndmask_b32 v[vgprG2Lpipe1], v[vgprFp16AltTmp], v[vgprG2Lpipe1], s[sgprFp16AltNanCheck:sgprFp16AltNanCheck+1] // 
v_pack_b32_f16 v[vgprG2LB+1], v[vgprG2Lpipe0], v[vgprG2Lpipe1], op_sel:[1,1,0] // 
_ds_store_b64 v[vgprLocalWriteAddrB], v[vgprG2LB+0:vgprG2LB+0+1] offset:0 // lwoB_0_0_0_0 = (0*LSCB) + (0*LSPB)(*MT1J+PAD) = 0
v_mfma_f32_32x32x8bf16_1k a[32+0:47+0], v[vgprValuB_X1_I0+2+0+0:vgprValuB_X1_I0+2+0+0+1], v[vgprValuA_X1_I0+0+0+0:vgprValuA_X1_I0+0+0+0+1], a[32:47]
/*  mfmaIndex:10  */
_ds_load_u16_d16_hi v87, v[vgprLocalReadAddrB] offset:7552 // L -> Reg lro=3072 swapByteOffset=0 ti=64 vIdx=2 rIdx=3 oIdx=0 buffer=2 iui=0
/* localReadsVacancy: latencyLeft 11 */
_ds_load_u16 v[vgprValuA_X3_I0+0], v[vgprLocalReadAddrA] offset:6144 // L -> Reg lro=3072 swapByteOffset=0 ti=64 vIdx=0 rIdx=0 oIdx=0 buffer=3 iui=0
_ds_load_u16 v[vgprValuA_X3_I0+1], v[vgprLocalReadAddrA] offset:6656 // L -> Reg lro=3072 swapByteOffset=0 ti=64 vIdx=0 rIdx=2 oIdx=0 buffer=3 iui=0
_ds_load_u16 v[vgprValuB_X3_I0+0], v[vgprLocalReadAddrB] offset:9216 // L -> Reg lro=4608 swapByteOffset=0 ti=64 vIdx=0 rIdx=0 oIdx=0 buffer=3 iui=0
_ds_load_u16 v[vgprValuB_X3_I0+1], v[vgprLocalReadAddrB] offset:9984 // L -> Reg lro=4608 swapByteOffset=0 ti=64 vIdx=0 rIdx=2 oIdx=0 buffer=3 iui=0
_ds_load_u16 v[vgprValuA_X3_I0+2], v[vgprLocalReadAddrA] offset:6272 // L -> Reg lro=3072 swapByteOffset=0 ti=64 vIdx=1 rIdx=0 oIdx=0 buffer=3 iui=0
v_mfma_f32_32x32x8bf16_1k a[64+0:79+0], v[vgprValuB_X1_I0+4+0+0:vgprValuB_X1_I0+4+0+0+1], v[vgprValuA_X1_I0+0+0+0:vgprValuA_X1_I0+0+0+0+1], a[64:79]
/*  mfmaIndex:11  */
/* localReadsVacancy: latencyLeft 7 */
_ds_load_u16 v[vgprValuA_X3_I0+3], v[vgprLocalReadAddrA] offset:6784 // L -> Reg lro=3072 swapByteOffset=0 ti=64 vIdx=1 rIdx=2 oIdx=0 buffer=3 iui=0
_ds_load_u16 v[vgprValuB_X3_I0+2], v[vgprLocalReadAddrB] offset:9344 // L -> Reg lro=4608 swapByteOffset=0 ti=64 vIdx=1 rIdx=0 oIdx=0 buffer=3 iui=0
_ds_load_u16 v[vgprValuB_X3_I0+3], v[vgprLocalReadAddrB] offset:10112 // L -> Reg lro=4608 swapByteOffset=0 ti=64 vIdx=1 rIdx=2 oIdx=0 buffer=3 iui=0
/* sched write - iter 1 writesPerItem=1 */
s_waitcnt vmcnt(0)                                 // lgkmcnt=-1 vmcnt=0wait for global read before writing to local
v_cvt_f32_f16 v[vgprG2Lpipe0], v[vgprG2LB+2]       // 
v_cmp_u_f32 s[sgprFp16AltNanCheck:sgprFp16AltNanCheck+1], v[vgprG2Lpipe0], v[vgprG2Lpipe0] // check NaN
v_add_u32 v[vgprFp16AltTmp], s[sgprFp16AltOffset], v[vgprG2Lpipe0] // 
v_cndmask_b32 v[vgprG2Lpipe0], v[vgprFp16AltTmp], v[vgprG2Lpipe0], s[sgprFp16AltNanCheck:sgprFp16AltNanCheck+1] // 
v_cvt_f32_f16 v[vgprG2Lpipe1], v[vgprG2LB+2], src0_sel:WORD_1 // 
v_cmp_u_f32 s[sgprFp16AltNanCheck:sgprFp16AltNanCheck+1], v[vgprG2Lpipe1], v[vgprG2Lpipe1] // check NaN
v_add_u32 v[vgprFp16AltTmp], s[sgprFp16AltOffset], v[vgprG2Lpipe1] // 
v_cndmask_b32 v[vgprG2Lpipe1], v[vgprFp16AltTmp], v[vgprG2Lpipe1], s[sgprFp16AltNanCheck:sgprFp16AltNanCheck+1] // 
v_pack_b32_f16 v[vgprG2LB+2], v[vgprG2Lpipe0], v[vgprG2Lpipe1], op_sel:[1,1,0] // 
v_cvt_f32_f16 v[vgprG2Lpipe0], v[vgprG2LB+3]       // 
v_cmp_u_f32 s[sgprFp16AltNanCheck:sgprFp16AltNanCheck+1], v[vgprG2Lpipe0], v[vgprG2Lpipe0] // check NaN
v_add_u32 v[vgprFp16AltTmp], s[sgprFp16AltOffset], v[vgprG2Lpipe0] // 
v_cndmask_b32 v[vgprG2Lpipe0], v[vgprFp16AltTmp], v[vgprG2Lpipe0], s[sgprFp16AltNanCheck:sgprFp16AltNanCheck+1] // 
v_cvt_f32_f16 v[vgprG2Lpipe1], v[vgprG2LB+3], src0_sel:WORD_1 // 
v_cmp_u_f32 s[sgprFp16AltNanCheck:sgprFp16AltNanCheck+1], v[vgprG2Lpipe1], v[vgprG2Lpipe1] // check NaN
v_add_u32 v[vgprFp16AltTmp], s[sgprFp16AltOffset], v[vgprG2Lpipe1] // 
v_cndmask_b32 v[vgprG2Lpipe1], v[vgprFp16AltTmp], v[vgprG2Lpipe1], s[sgprFp16AltNanCheck:sgprFp16AltNanCheck+1] // 
v_pack_b32_f16 v[vgprG2LB+3], v[vgprG2Lpipe0], v[vgprG2Lpipe1], op_sel:[1,1,0] // 
_ds_store_b64 v[vgprLocalWriteAddrB], v[vgprG2LB+2:vgprG2LB+2+1] offset:128 // lwoB_1_0_0_0 = (1*LSCB) + (0*LSPB)(*MT1J+PAD) = 128
v_mfma_f32_32x32x8bf16_1k a[80+0:95+0], v[vgprValuB_X1_I0+4+0+0:vgprValuB_X1_I0+4+0+0+1], v[vgprValuA_X1_I0+2+0+0:vgprValuA_X1_I0+2+0+0+1], a[80:95]
/* numPrefetchIter=0 */
/* dataAtIterA=0 numReadsIterA=2 skipReadsIterA=1 readsPerIterA=8 */
/* dataAtIterB=0 numReadsIterB=2 skipReadsIterB=1 readsPerIterB=12 */


/* iter 2 (reset local read pointers iteration)  (swap local read pointers iteration)  */

/*  grEndMfmaIndex:2, lwStartMfmaIndex:4, lwEndMfmaIndex:18  */
/*  numMfmaForLR:4, barrierMfmaIndex:19, LocalWritePerMfma:0.670 */
/*  mfmaIndex:12  */
_ds_load_u16_d16_hi v88, v[vgprLocalReadAddrA] offset:6400 // L -> Reg lro=3072 swapByteOffset=0 ti=64 vIdx=0 rIdx=1 oIdx=0 buffer=3 iui=0
_ds_load_u16_d16_hi v89, v[vgprLocalReadAddrA] offset:6912 // L -> Reg lro=3072 swapByteOffset=0 ti=64 vIdx=0 rIdx=3 oIdx=0 buffer=3 iui=0
_ds_load_u16_d16_hi v92, v[vgprLocalReadAddrB] offset:9600 // L -> Reg lro=4608 swapByteOffset=0 ti=64 vIdx=0 rIdx=1 oIdx=0 buffer=3 iui=0
/* sched write - iter 2 writesPerItem=1 */
s_waitcnt vmcnt(0)                                 // lgkmcnt=-1 vmcnt=0wait for global read before writing to local
v_cvt_f32_f16 v[vgprG2Lpipe0], v[vgprG2LB+4]       // 
v_cmp_u_f32 s[sgprFp16AltNanCheck:sgprFp16AltNanCheck+1], v[vgprG2Lpipe0], v[vgprG2Lpipe0] // check NaN
v_add_u32 v[vgprFp16AltTmp], s[sgprFp16AltOffset], v[vgprG2Lpipe0] // 
v_cndmask_b32 v[vgprG2Lpipe0], v[vgprFp16AltTmp], v[vgprG2Lpipe0], s[sgprFp16AltNanCheck:sgprFp16AltNanCheck+1] // 
v_cvt_f32_f16 v[vgprG2Lpipe1], v[vgprG2LB+4], src0_sel:WORD_1 // 
v_cmp_u_f32 s[sgprFp16AltNanCheck:sgprFp16AltNanCheck+1], v[vgprG2Lpipe1], v[vgprG2Lpipe1] // check NaN
v_add_u32 v[vgprFp16AltTmp], s[sgprFp16AltOffset], v[vgprG2Lpipe1] // 
v_cndmask_b32 v[vgprG2Lpipe1], v[vgprFp16AltTmp], v[vgprG2Lpipe1], s[sgprFp16AltNanCheck:sgprFp16AltNanCheck+1] // 
v_pack_b32_f16 v[vgprG2LB+4], v[vgprG2Lpipe0], v[vgprG2Lpipe1], op_sel:[1,1,0] // 
v_cvt_f32_f16 v[vgprG2Lpipe0], v[vgprG2LB+5]       // 
v_cmp_u_f32 s[sgprFp16AltNanCheck:sgprFp16AltNanCheck+1], v[vgprG2Lpipe0], v[vgprG2Lpipe0] // check NaN
v_add_u32 v[vgprFp16AltTmp], s[sgprFp16AltOffset], v[vgprG2Lpipe0] // 
v_cndmask_b32 v[vgprG2Lpipe0], v[vgprFp16AltTmp], v[vgprG2Lpipe0], s[sgprFp16AltNanCheck:sgprFp16AltNanCheck+1] // 
v_cvt_f32_f16 v[vgprG2Lpipe1], v[vgprG2LB+5], src0_sel:WORD_1 // 
v_cmp_u_f32 s[sgprFp16AltNanCheck:sgprFp16AltNanCheck+1], v[vgprG2Lpipe1], v[vgprG2Lpipe1] // check NaN
v_add_u32 v[vgprFp16AltTmp], s[sgprFp16AltOffset], v[vgprG2Lpipe1] // 
v_cndmask_b32 v[vgprG2Lpipe1], v[vgprFp16AltTmp], v[vgprG2Lpipe1], s[sgprFp16AltNanCheck:sgprFp16AltNanCheck+1] // 
v_pack_b32_f16 v[vgprG2LB+5], v[vgprG2Lpipe0], v[vgprG2Lpipe1], op_sel:[1,1,0] // 
_ds_store_b64 v[vgprLocalWriteAddrB], v[vgprG2LB+4:vgprG2LB+4+1] offset:256 // lwoB_2_0_0_0 = (2*LSCB) + (0*LSPB)(*MT1J+PAD) = 256
s_waitcnt lgkmcnt(13)                              // lgkmcnt=0 vmcnt=-1wait for prior local read local write old=8, new=13 newLW=2 newLR=3
/* pack scheduling: packAIdx:2, packBIdx:2 */
v_or_b32 v[vgprValuA_X2_I0+0], v[vgprValuA_X2_I0+0], v78 // pack two half Vgpr to one Vgpr
v_or_b32 v[vgprValuA_X2_I0+1], v[vgprValuA_X2_I0+1], v79 // pack two half Vgpr to one Vgpr
v_or_b32 v[vgprValuB_X2_I0+0], v[vgprValuB_X2_I0+0], v82 // pack two half Vgpr to one Vgpr
v_or_b32 v[vgprValuB_X2_I0+1], v[vgprValuB_X2_I0+1], v83 // pack two half Vgpr to one Vgpr
v_or_b32 v[vgprValuA_X2_I0+2], v[vgprValuA_X2_I0+2], v80 // pack two half Vgpr to one Vgpr
v_or_b32 v[vgprValuA_X2_I0+3], v[vgprValuA_X2_I0+3], v81 // pack two half Vgpr to one Vgpr
v_mfma_f32_32x32x8bf16_1k a[0+0:15+0], v[vgprValuB_X2_I0+0+0+0:vgprValuB_X2_I0+0+0+0+1], v[vgprValuA_X2_I0+0+0+0:vgprValuA_X2_I0+0+0+0+1], a[0:15]
/*  mfmaIndex:13  */
_ds_load_u16_d16_hi v93, v[vgprLocalReadAddrB] offset:10368 // L -> Reg lro=4608 swapByteOffset=0 ti=64 vIdx=0 rIdx=3 oIdx=0 buffer=3 iui=0
_ds_load_u16_d16_hi v90, v[vgprLocalReadAddrA] offset:6528 // L -> Reg lro=3072 swapByteOffset=0 ti=64 vIdx=1 rIdx=1 oIdx=0 buffer=3 iui=0
_ds_load_u16_d16_hi v91, v[vgprLocalReadAddrA] offset:7040 // L -> Reg lro=3072 swapByteOffset=0 ti=64 vIdx=1 rIdx=3 oIdx=0 buffer=3 iui=0
_ds_load_u16_d16_hi v94, v[vgprLocalReadAddrB] offset:9728 // L -> Reg lro=4608 swapByteOffset=0 ti=64 vIdx=1 rIdx=1 oIdx=0 buffer=3 iui=0
_ds_load_u16_d16_hi v95, v[vgprLocalReadAddrB] offset:10496 // L -> Reg lro=4608 swapByteOffset=0 ti=64 vIdx=1 rIdx=3 oIdx=0 buffer=3 iui=0
_ds_load_u16 v[vgprValuB_X3_I0+4], v[vgprLocalReadAddrB] offset:9472 // L -> Reg lro=4608 swapByteOffset=0 ti=64 vIdx=2 rIdx=0 oIdx=0 buffer=3 iui=0
/* pack scheduling: packAIdx:4, packBIdx:2 */
v_or_b32 v[vgprValuB_X2_I0+2], v[vgprValuB_X2_I0+2], v84 // pack two half Vgpr to one Vgpr
v_or_b32 v[vgprValuB_X2_I0+3], v[vgprValuB_X2_I0+3], v85 // pack two half Vgpr to one Vgpr
v_or_b32 v[vgprValuB_X2_I0+4], v[vgprValuB_X2_I0+4], v86 // pack two half Vgpr to one Vgpr
v_or_b32 v[vgprValuB_X2_I0+5], v[vgprValuB_X2_I0+5], v87 // pack two half Vgpr to one Vgpr
v_mfma_f32_32x32x8bf16_1k a[16+0:31+0], v[vgprValuB_X2_I0+0+0+0:vgprValuB_X2_I0+0+0+0+1], v[vgprValuA_X2_I0+2+0+0:vgprValuA_X2_I0+2+0+0+1], a[16:31]
/*  mfmaIndex:14  */
_ds_load_u16_d16_hi v96, v[vgprLocalReadAddrB] offset:9856 // L -> Reg lro=4608 swapByteOffset=0 ti=64 vIdx=2 rIdx=1 oIdx=0 buffer=3 iui=0
_ds_load_u16 v[vgprValuB_X3_I0+5], v[vgprLocalReadAddrB] offset:10240 // L -> Reg lro=4608 swapByteOffset=0 ti=64 vIdx=2 rIdx=2 oIdx=0 buffer=3 iui=0
_ds_load_u16_d16_hi v97, v[vgprLocalReadAddrB] offset:10624 // L -> Reg lro=4608 swapByteOffset=0 ti=64 vIdx=2 rIdx=3 oIdx=0 buffer=3 iui=0
/* localReadsVacancy: latencyLeft 1 */
/* sched write - iter 2 writesPerItem=1 */
s_waitcnt vmcnt(0)                                 // lgkmcnt=-1 vmcnt=0wait for global read before writing to local
v_cvt_f32_f16 v[vgprG2Lpipe0], v[vgprG2LB+6]       // 
v_cmp_u_f32 s[sgprFp16AltNanCheck:sgprFp16AltNanCheck+1], v[vgprG2Lpipe0], v[vgprG2Lpipe0] // check NaN
v_add_u32 v[vgprFp16AltTmp], s[sgprFp16AltOffset], v[vgprG2Lpipe0] // 
v_cndmask_b32 v[vgprG2Lpipe0], v[vgprFp16AltTmp], v[vgprG2Lpipe0], s[sgprFp16AltNanCheck:sgprFp16AltNanCheck+1] // 
v_cvt_f32_f16 v[vgprG2Lpipe1], v[vgprG2LB+6], src0_sel:WORD_1 // 
v_cmp_u_f32 s[sgprFp16AltNanCheck:sgprFp16AltNanCheck+1], v[vgprG2Lpipe1], v[vgprG2Lpipe1] // check NaN
v_add_u32 v[vgprFp16AltTmp], s[sgprFp16AltOffset], v[vgprG2Lpipe1] // 
v_cndmask_b32 v[vgprG2Lpipe1], v[vgprFp16AltTmp], v[vgprG2Lpipe1], s[sgprFp16AltNanCheck:sgprFp16AltNanCheck+1] // 
v_pack_b32_f16 v[vgprG2LB+6], v[vgprG2Lpipe0], v[vgprG2Lpipe1], op_sel:[1,1,0] // 
v_cvt_f32_f16 v[vgprG2Lpipe0], v[vgprG2LB+7]       // 
v_cmp_u_f32 s[sgprFp16AltNanCheck:sgprFp16AltNanCheck+1], v[vgprG2Lpipe0], v[vgprG2Lpipe0] // check NaN
v_add_u32 v[vgprFp16AltTmp], s[sgprFp16AltOffset], v[vgprG2Lpipe0] // 
v_cndmask_b32 v[vgprG2Lpipe0], v[vgprFp16AltTmp], v[vgprG2Lpipe0], s[sgprFp16AltNanCheck:sgprFp16AltNanCheck+1] // 
v_cvt_f32_f16 v[vgprG2Lpipe1], v[vgprG2LB+7], src0_sel:WORD_1 // 
v_cmp_u_f32 s[sgprFp16AltNanCheck:sgprFp16AltNanCheck+1], v[vgprG2Lpipe1], v[vgprG2Lpipe1] // check NaN
v_add_u32 v[vgprFp16AltTmp], s[sgprFp16AltOffset], v[vgprG2Lpipe1] // 
v_cndmask_b32 v[vgprG2Lpipe1], v[vgprFp16AltTmp], v[vgprG2Lpipe1], s[sgprFp16AltNanCheck:sgprFp16AltNanCheck+1] // 
v_pack_b32_f16 v[vgprG2LB+7], v[vgprG2Lpipe0], v[vgprG2Lpipe1], op_sel:[1,1,0] // 
_ds_store_b64 v[vgprLocalWriteAddrB], v[vgprG2LB+6:vgprG2LB+6+1] offset:6144 // lwoB_0_0_1_0 = (0*LSCB) + (1*LSPB)(*MT1J+PAD) = 6144
v_mfma_f32_32x32x8bf16_1k a[48+0:63+0], v[vgprValuB_X2_I0+2+0+0:vgprValuB_X2_I0+2+0+0+1], v[vgprValuA_X2_I0+2+0+0:vgprValuA_X2_I0+2+0+0+1], a[48:63]
/*  mfmaIndex:15  */
/* localReadsVacancy: latencyLeft 7 */
/* sched write - iter 2 writesPerItem=1 */
s_waitcnt vmcnt(0)                                 // lgkmcnt=-1 vmcnt=0wait for global read before writing to local
v_cvt_f32_f16 v[vgprG2Lpipe0], v[vgprG2LB+8]       // 
v_cmp_u_f32 s[sgprFp16AltNanCheck:sgprFp16AltNanCheck+1], v[vgprG2Lpipe0], v[vgprG2Lpipe0] // check NaN
v_add_u32 v[vgprFp16AltTmp], s[sgprFp16AltOffset], v[vgprG2Lpipe0] // 
v_cndmask_b32 v[vgprG2Lpipe0], v[vgprFp16AltTmp], v[vgprG2Lpipe0], s[sgprFp16AltNanCheck:sgprFp16AltNanCheck+1] // 
v_cvt_f32_f16 v[vgprG2Lpipe1], v[vgprG2LB+8], src0_sel:WORD_1 // 
v_cmp_u_f32 s[sgprFp16AltNanCheck:sgprFp16AltNanCheck+1], v[vgprG2Lpipe1], v[vgprG2Lpipe1] // check NaN
v_add_u32 v[vgprFp16AltTmp], s[sgprFp16AltOffset], v[vgprG2Lpipe1] // 
v_cndmask_b32 v[vgprG2Lpipe1], v[vgprFp16AltTmp], v[vgprG2Lpipe1], s[sgprFp16AltNanCheck:sgprFp16AltNanCheck+1] // 
v_pack_b32_f16 v[vgprG2LB+8], v[vgprG2Lpipe0], v[vgprG2Lpipe1], op_sel:[1,1,0] // 
v_cvt_f32_f16 v[vgprG2Lpipe0], v[vgprG2LB+9]       // 
v_cmp_u_f32 s[sgprFp16AltNanCheck:sgprFp16AltNanCheck+1], v[vgprG2Lpipe0], v[vgprG2Lpipe0] // check NaN
v_add_u32 v[vgprFp16AltTmp], s[sgprFp16AltOffset], v[vgprG2Lpipe0] // 
v_cndmask_b32 v[vgprG2Lpipe0], v[vgprFp16AltTmp], v[vgprG2Lpipe0], s[sgprFp16AltNanCheck:sgprFp16AltNanCheck+1] // 
v_cvt_f32_f16 v[vgprG2Lpipe1], v[vgprG2LB+9], src0_sel:WORD_1 // 
v_cmp_u_f32 s[sgprFp16AltNanCheck:sgprFp16AltNanCheck+1], v[vgprG2Lpipe1], v[vgprG2Lpipe1] // check NaN
v_add_u32 v[vgprFp16AltTmp], s[sgprFp16AltOffset], v[vgprG2Lpipe1] // 
v_cndmask_b32 v[vgprG2Lpipe1], v[vgprFp16AltTmp], v[vgprG2Lpipe1], s[sgprFp16AltNanCheck:sgprFp16AltNanCheck+1] // 
v_pack_b32_f16 v[vgprG2LB+9], v[vgprG2Lpipe0], v[vgprG2Lpipe1], op_sel:[1,1,0] // 
_ds_store_b64 v[vgprLocalWriteAddrB], v[vgprG2LB+8:vgprG2LB+8+1] offset:6272 // lwoB_1_0_1_0 = (1*LSCB) + (1*LSPB)(*MT1J+PAD) = 6272
v_mfma_f32_32x32x8bf16_1k a[32+0:47+0], v[vgprValuB_X2_I0+2+0+0:vgprValuB_X2_I0+2+0+0+1], v[vgprValuA_X2_I0+0+0+0:vgprValuA_X2_I0+0+0+0+1], a[32:47]
/*  mfmaIndex:16  */
/* localReadsVacancy: latencyLeft 13 */
v_mfma_f32_32x32x8bf16_1k a[64+0:79+0], v[vgprValuB_X2_I0+4+0+0:vgprValuB_X2_I0+4+0+0+1], v[vgprValuA_X2_I0+0+0+0:vgprValuA_X2_I0+0+0+0+1], a[64:79]
/*  mfmaIndex:17  */
/* localReadsVacancy: latencyLeft 7 */
/* sched write - iter 2 writesPerItem=1 */
s_waitcnt vmcnt(0)                                 // lgkmcnt=-1 vmcnt=0wait for global read before writing to local
v_cvt_f32_f16 v[vgprG2Lpipe0], v[vgprG2LB+10]      // 
v_cmp_u_f32 s[sgprFp16AltNanCheck:sgprFp16AltNanCheck+1], v[vgprG2Lpipe0], v[vgprG2Lpipe0] // check NaN
v_add_u32 v[vgprFp16AltTmp], s[sgprFp16AltOffset], v[vgprG2Lpipe0] // 
v_cndmask_b32 v[vgprG2Lpipe0], v[vgprFp16AltTmp], v[vgprG2Lpipe0], s[sgprFp16AltNanCheck:sgprFp16AltNanCheck+1] // 
v_cvt_f32_f16 v[vgprG2Lpipe1], v[vgprG2LB+10], src0_sel:WORD_1 // 
v_cmp_u_f32 s[sgprFp16AltNanCheck:sgprFp16AltNanCheck+1], v[vgprG2Lpipe1], v[vgprG2Lpipe1] // check NaN
v_add_u32 v[vgprFp16AltTmp], s[sgprFp16AltOffset], v[vgprG2Lpipe1] // 
v_cndmask_b32 v[vgprG2Lpipe1], v[vgprFp16AltTmp], v[vgprG2Lpipe1], s[sgprFp16AltNanCheck:sgprFp16AltNanCheck+1] // 
v_pack_b32_f16 v[vgprG2LB+10], v[vgprG2Lpipe0], v[vgprG2Lpipe1], op_sel:[1,1,0] // 
v_cvt_f32_f16 v[vgprG2Lpipe0], v[vgprG2LB+11]      // 
v_cmp_u_f32 s[sgprFp16AltNanCheck:sgprFp16AltNanCheck+1], v[vgprG2Lpipe0], v[vgprG2Lpipe0] // check NaN
v_add_u32 v[vgprFp16AltTmp], s[sgprFp16AltOffset], v[vgprG2Lpipe0] // 
v_cndmask_b32 v[vgprG2Lpipe0], v[vgprFp16AltTmp], v[vgprG2Lpipe0], s[sgprFp16AltNanCheck:sgprFp16AltNanCheck+1] // 
v_cvt_f32_f16 v[vgprG2Lpipe1], v[vgprG2LB+11], src0_sel:WORD_1 // 
v_cmp_u_f32 s[sgprFp16AltNanCheck:sgprFp16AltNanCheck+1], v[vgprG2Lpipe1], v[vgprG2Lpipe1] // check NaN
v_add_u32 v[vgprFp16AltTmp], s[sgprFp16AltOffset], v[vgprG2Lpipe1] // 
v_cndmask_b32 v[vgprG2Lpipe1], v[vgprFp16AltTmp], v[vgprG2Lpipe1], s[sgprFp16AltNanCheck:sgprFp16AltNanCheck+1] // 
v_pack_b32_f16 v[vgprG2LB+11], v[vgprG2Lpipe0], v[vgprG2Lpipe1], op_sel:[1,1,0] // 
_ds_store_b64 v[vgprLocalWriteAddrB], v[vgprG2LB+10:vgprG2LB+10+1] offset:6400 // lwoB_2_0_1_0 = (2*LSCB) + (1*LSPB)(*MT1J+PAD) = 6400

/* local read swap offsets a */
v_xor_b32 v[vgprLocalReadAddrA], 0x8000, v[vgprLocalReadAddrA] // swap Red Blk

/* local read swap offsets b */
v_xor_b32 v[vgprLocalReadAddrB], 0x8000, v[vgprLocalReadAddrB] // swap Red Blk

/* local read init pointers a */

/* localReadInitPointers */

/* local read init pointers b */

/* localReadInitPointers */
v_mfma_f32_32x32x8bf16_1k a[80+0:95+0], v[vgprValuB_X2_I0+4+0+0:vgprValuB_X2_I0+4+0+0+1], v[vgprValuA_X2_I0+2+0+0:vgprValuA_X2_I0+2+0+0+1], a[80:95]
/* numPrefetchIter=0 */
/* dataAtIterA=1 numReadsIterA=3 skipReadsIterA=1 readsPerIterA=8 */
/* dataAtIterB=1 numReadsIterB=3 skipReadsIterB=1 readsPerIterB=12 */


/* iter 3 (swap and reset local write pointers iteration)  */

/*  grEndMfmaIndex:2, lwStartMfmaIndex:4, lwEndMfmaIndex:18  */
/*  numMfmaForLR:4, barrierMfmaIndex:19, LocalWritePerMfma:0.670 */
/*  mfmaIndex:18  */

/* local write swap offsets a */
v_xor_b32 v[vgprLocalWriteAddrA+0], 0x8000, v[vgprLocalWriteAddrA+0] // swap Red Blk

/* local write swap offsets b */
v_xor_b32 v[vgprLocalWriteAddrB+0], 0x8000, v[vgprLocalWriteAddrB+0] // swap Red Blk
s_waitcnt lgkmcnt(3)                               // lgkmcnt=0 vmcnt=-1wait for prior local read local write old=0, new=3 newLW=3 newLR=0
/* pack scheduling: packAIdx:2, packBIdx:2 */
v_or_b32 v[vgprValuA_X3_I0+0], v[vgprValuA_X3_I0+0], v88 // pack two half Vgpr to one Vgpr
v_or_b32 v[vgprValuA_X3_I0+1], v[vgprValuA_X3_I0+1], v89 // pack two half Vgpr to one Vgpr
v_or_b32 v[vgprValuB_X3_I0+0], v[vgprValuB_X3_I0+0], v92 // pack two half Vgpr to one Vgpr
v_or_b32 v[vgprValuB_X3_I0+1], v[vgprValuB_X3_I0+1], v93 // pack two half Vgpr to one Vgpr
v_or_b32 v[vgprValuA_X3_I0+2], v[vgprValuA_X3_I0+2], v90 // pack two half Vgpr to one Vgpr
v_or_b32 v[vgprValuA_X3_I0+3], v[vgprValuA_X3_I0+3], v91 // pack two half Vgpr to one Vgpr
v_mfma_f32_32x32x8bf16_1k a[0+0:15+0], v[vgprValuB_X3_I0+0+0+0:vgprValuB_X3_I0+0+0+0+1], v[vgprValuA_X3_I0+0+0+0:vgprValuA_X3_I0+0+0+0+1], a[0:15]
/*  mfmaIndex:19  */
s_waitcnt lgkmcnt(0)                               // lgkmcnt=0 vmcnt=-13wait for local write
// Skip force waitcnt0
s_barrier //
/* pack scheduling: packAIdx:4, packBIdx:2 */
v_or_b32 v[vgprValuB_X3_I0+2], v[vgprValuB_X3_I0+2], v94 // pack two half Vgpr to one Vgpr
v_or_b32 v[vgprValuB_X3_I0+3], v[vgprValuB_X3_I0+3], v95 // pack two half Vgpr to one Vgpr
	;; [unrolled: 1-line block ×4, first 2 shown]
v_mfma_f32_32x32x8bf16_1k a[16+0:31+0], v[vgprValuB_X3_I0+0+0+0:vgprValuB_X3_I0+0+0+0+1], v[vgprValuA_X3_I0+2+0+0:vgprValuA_X3_I0+2+0+0+1], a[16:31]
/*  mfmaIndex:20  */
_ds_load_u16 v[vgprValuA_X0_I0+0], v[vgprLocalReadAddrA] offset:0 // L -> Reg lro=0 swapByteOffset=0 ti=64 vIdx=0 rIdx=0 oIdx=0 buffer=0 iui=0
_ds_load_u16_d16_hi v78, v[vgprLocalReadAddrA] offset:256 // L -> Reg lro=0 swapByteOffset=0 ti=64 vIdx=0 rIdx=1 oIdx=0 buffer=0 iui=0
_ds_load_u16 v[vgprValuA_X0_I0+1], v[vgprLocalReadAddrA] offset:512 // L -> Reg lro=0 swapByteOffset=0 ti=64 vIdx=0 rIdx=2 oIdx=0 buffer=0 iui=0
_ds_load_u16_d16_hi v79, v[vgprLocalReadAddrA] offset:768 // L -> Reg lro=0 swapByteOffset=0 ti=64 vIdx=0 rIdx=3 oIdx=0 buffer=0 iui=0
_ds_load_u16 v[vgprValuB_X0_I0+0], v[vgprLocalReadAddrB] offset:0 // L -> Reg lro=0 swapByteOffset=0 ti=64 vIdx=0 rIdx=0 oIdx=0 buffer=0 iui=0
_ds_load_u16_d16_hi v82, v[vgprLocalReadAddrB] offset:384 // L -> Reg lro=0 swapByteOffset=0 ti=64 vIdx=0 rIdx=1 oIdx=0 buffer=0 iui=0
v_mfma_f32_32x32x8bf16_1k a[48+0:63+0], v[vgprValuB_X3_I0+2+0+0:vgprValuB_X3_I0+2+0+0+1], v[vgprValuA_X3_I0+2+0+0:vgprValuA_X3_I0+2+0+0+1], a[48:63]
/*  mfmaIndex:21  */
_ds_load_u16 v[vgprValuB_X0_I0+1], v[vgprLocalReadAddrB] offset:768 // L -> Reg lro=0 swapByteOffset=0 ti=64 vIdx=0 rIdx=2 oIdx=0 buffer=0 iui=0
_ds_load_u16_d16_hi v83, v[vgprLocalReadAddrB] offset:1152 // L -> Reg lro=0 swapByteOffset=0 ti=64 vIdx=0 rIdx=3 oIdx=0 buffer=0 iui=0
_ds_load_u16 v[vgprValuA_X0_I0+2], v[vgprLocalReadAddrA] offset:128 // L -> Reg lro=0 swapByteOffset=0 ti=64 vIdx=1 rIdx=0 oIdx=0 buffer=0 iui=0
_ds_load_u16_d16_hi v80, v[vgprLocalReadAddrA] offset:384 // L -> Reg lro=0 swapByteOffset=0 ti=64 vIdx=1 rIdx=1 oIdx=0 buffer=0 iui=0
_ds_load_u16 v[vgprValuA_X0_I0+3], v[vgprLocalReadAddrA] offset:640 // L -> Reg lro=0 swapByteOffset=0 ti=64 vIdx=1 rIdx=2 oIdx=0 buffer=0 iui=0
_ds_load_u16_d16_hi v81, v[vgprLocalReadAddrA] offset:896 // L -> Reg lro=0 swapByteOffset=0 ti=64 vIdx=1 rIdx=3 oIdx=0 buffer=0 iui=0
v_mfma_f32_32x32x8bf16_1k a[32+0:47+0], v[vgprValuB_X3_I0+2+0+0:vgprValuB_X3_I0+2+0+0+1], v[vgprValuA_X3_I0+0+0+0:vgprValuA_X3_I0+0+0+0+1], a[32:47]
/*  mfmaIndex:22  */
_ds_load_u16 v[vgprValuB_X0_I0+2], v[vgprLocalReadAddrB] offset:128 // L -> Reg lro=0 swapByteOffset=0 ti=64 vIdx=1 rIdx=0 oIdx=0 buffer=0 iui=0
_ds_load_u16_d16_hi v84, v[vgprLocalReadAddrB] offset:512 // L -> Reg lro=0 swapByteOffset=0 ti=64 vIdx=1 rIdx=1 oIdx=0 buffer=0 iui=0
_ds_load_u16 v[vgprValuB_X0_I0+3], v[vgprLocalReadAddrB] offset:896 // L -> Reg lro=0 swapByteOffset=0 ti=64 vIdx=1 rIdx=2 oIdx=0 buffer=0 iui=0
_ds_load_u16_d16_hi v85, v[vgprLocalReadAddrB] offset:1280 // L -> Reg lro=0 swapByteOffset=0 ti=64 vIdx=1 rIdx=3 oIdx=0 buffer=0 iui=0
	;; [unrolled: 2-line block ×3, first 2 shown]
v_mfma_f32_32x32x8bf16_1k a[64+0:79+0], v[vgprValuB_X3_I0+4+0+0:vgprValuB_X3_I0+4+0+0+1], v[vgprValuA_X3_I0+0+0+0:vgprValuA_X3_I0+0+0+0+1], a[64:79]
/*  mfmaIndex:23  */
_ds_load_u16 v[vgprValuB_X0_I0+5], v[vgprLocalReadAddrB] offset:1024 // L -> Reg lro=0 swapByteOffset=0 ti=64 vIdx=2 rIdx=2 oIdx=0 buffer=0 iui=0
_ds_load_u16_d16_hi v87, v[vgprLocalReadAddrB] offset:1408 // L -> Reg lro=0 swapByteOffset=0 ti=64 vIdx=2 rIdx=3 oIdx=0 buffer=0 iui=0
v_mfma_f32_32x32x8bf16_1k a[80+0:95+0], v[vgprValuB_X3_I0+4+0+0:vgprValuB_X3_I0+4+0+0+1], v[vgprValuA_X3_I0+2+0+0:vgprValuA_X3_I0+2+0+0+1], a[80:95]
/* numPrefetchIter=1 */
/* dataAtIterA=2 numReadsIterA=3 skipReadsIterA=1 readsPerIterA=8 */
/* dataAtIterB=2 numReadsIterB=3 skipReadsIterB=1 readsPerIterB=12 */

label_0014:


/******************************************/
/* Ord. NoLoadLoop - Begin                                      */
/******************************************/


	;; [unrolled: 1-line block ×4, first 2 shown]
/* iter 0 (last unrolled loop) */

/*  grEndMfmaIndex:0, lwStartMfmaIndex:18, lwEndMfmaIndex:18  */
/*  numMfmaForLR:4, barrierMfmaIndex:19, LocalWritePerMfma:0.670 */
/*  mfmaIndex:0  */
s_waitcnt lgkmcnt(0)                               // lgkmcnt=0 vmcnt=-1wait for prior local read local write old=0, new=0 newLW=0 newLR=0
/* pack scheduling: packAIdx:2, packBIdx:2 */
v_or_b32 v[vgprValuA_X0_I0+0], v[vgprValuA_X0_I0+0], v78 // pack two half Vgpr to one Vgpr
v_or_b32 v[vgprValuA_X0_I0+1], v[vgprValuA_X0_I0+1], v79 // pack two half Vgpr to one Vgpr
v_or_b32 v[vgprValuB_X0_I0+0], v[vgprValuB_X0_I0+0], v82 // pack two half Vgpr to one Vgpr
v_or_b32 v[vgprValuB_X0_I0+1], v[vgprValuB_X0_I0+1], v83 // pack two half Vgpr to one Vgpr
v_or_b32 v[vgprValuA_X0_I0+2], v[vgprValuA_X0_I0+2], v80 // pack two half Vgpr to one Vgpr
v_or_b32 v[vgprValuA_X0_I0+3], v[vgprValuA_X0_I0+3], v81 // pack two half Vgpr to one Vgpr
v_mfma_f32_32x32x8bf16_1k a[0+0:15+0], v[vgprValuB_X0_I0+0+0+0:vgprValuB_X0_I0+0+0+0+1], v[vgprValuA_X0_I0+0+0+0:vgprValuA_X0_I0+0+0+0+1], a[0:15]
/*  mfmaIndex:1  */
_ds_load_u16 v[vgprValuA_X1_I0+0], v[vgprLocalReadAddrA] offset:2048 // L -> Reg lro=1024 swapByteOffset=0 ti=64 vIdx=0 rIdx=0 oIdx=0 buffer=1 iui=0
_ds_load_u16_d16_hi v88, v[vgprLocalReadAddrA] offset:2304 // L -> Reg lro=1024 swapByteOffset=0 ti=64 vIdx=0 rIdx=1 oIdx=0 buffer=1 iui=0
_ds_load_u16 v[vgprValuA_X1_I0+1], v[vgprLocalReadAddrA] offset:2560 // L -> Reg lro=1024 swapByteOffset=0 ti=64 vIdx=0 rIdx=2 oIdx=0 buffer=1 iui=0
_ds_load_u16_d16_hi v89, v[vgprLocalReadAddrA] offset:2816 // L -> Reg lro=1024 swapByteOffset=0 ti=64 vIdx=0 rIdx=3 oIdx=0 buffer=1 iui=0
_ds_load_u16 v[vgprValuB_X1_I0+0], v[vgprLocalReadAddrB] offset:3072 // L -> Reg lro=1536 swapByteOffset=0 ti=64 vIdx=0 rIdx=0 oIdx=0 buffer=1 iui=0
_ds_load_u16_d16_hi v92, v[vgprLocalReadAddrB] offset:3456 // L -> Reg lro=1536 swapByteOffset=0 ti=64 vIdx=0 rIdx=1 oIdx=0 buffer=1 iui=0
/* pack scheduling: packAIdx:4, packBIdx:2 */
v_or_b32 v[vgprValuB_X0_I0+2], v[vgprValuB_X0_I0+2], v84 // pack two half Vgpr to one Vgpr
v_or_b32 v[vgprValuB_X0_I0+3], v[vgprValuB_X0_I0+3], v85 // pack two half Vgpr to one Vgpr
	;; [unrolled: 1-line block ×4, first 2 shown]
v_mfma_f32_32x32x8bf16_1k a[16+0:31+0], v[vgprValuB_X0_I0+0+0+0:vgprValuB_X0_I0+0+0+0+1], v[vgprValuA_X0_I0+2+0+0:vgprValuA_X0_I0+2+0+0+1], a[16:31]
/*  mfmaIndex:2  */
_ds_load_u16 v[vgprValuB_X1_I0+1], v[vgprLocalReadAddrB] offset:3840 // L -> Reg lro=1536 swapByteOffset=0 ti=64 vIdx=0 rIdx=2 oIdx=0 buffer=1 iui=0
_ds_load_u16_d16_hi v93, v[vgprLocalReadAddrB] offset:4224 // L -> Reg lro=1536 swapByteOffset=0 ti=64 vIdx=0 rIdx=3 oIdx=0 buffer=1 iui=0
_ds_load_u16 v[vgprValuA_X1_I0+2], v[vgprLocalReadAddrA] offset:2176 // L -> Reg lro=1024 swapByteOffset=0 ti=64 vIdx=1 rIdx=0 oIdx=0 buffer=1 iui=0
_ds_load_u16_d16_hi v90, v[vgprLocalReadAddrA] offset:2432 // L -> Reg lro=1024 swapByteOffset=0 ti=64 vIdx=1 rIdx=1 oIdx=0 buffer=1 iui=0
_ds_load_u16 v[vgprValuA_X1_I0+3], v[vgprLocalReadAddrA] offset:2688 // L -> Reg lro=1024 swapByteOffset=0 ti=64 vIdx=1 rIdx=2 oIdx=0 buffer=1 iui=0
_ds_load_u16_d16_hi v91, v[vgprLocalReadAddrA] offset:2944 // L -> Reg lro=1024 swapByteOffset=0 ti=64 vIdx=1 rIdx=3 oIdx=0 buffer=1 iui=0
v_mfma_f32_32x32x8bf16_1k a[48+0:63+0], v[vgprValuB_X0_I0+2+0+0:vgprValuB_X0_I0+2+0+0+1], v[vgprValuA_X0_I0+2+0+0:vgprValuA_X0_I0+2+0+0+1], a[48:63]
/*  mfmaIndex:3  */
_ds_load_u16 v[vgprValuB_X1_I0+2], v[vgprLocalReadAddrB] offset:3200 // L -> Reg lro=1536 swapByteOffset=0 ti=64 vIdx=1 rIdx=0 oIdx=0 buffer=1 iui=0
_ds_load_u16_d16_hi v94, v[vgprLocalReadAddrB] offset:3584 // L -> Reg lro=1536 swapByteOffset=0 ti=64 vIdx=1 rIdx=1 oIdx=0 buffer=1 iui=0
_ds_load_u16 v[vgprValuB_X1_I0+3], v[vgprLocalReadAddrB] offset:3968 // L -> Reg lro=1536 swapByteOffset=0 ti=64 vIdx=1 rIdx=2 oIdx=0 buffer=1 iui=0
_ds_load_u16_d16_hi v95, v[vgprLocalReadAddrB] offset:4352 // L -> Reg lro=1536 swapByteOffset=0 ti=64 vIdx=1 rIdx=3 oIdx=0 buffer=1 iui=0
	;; [unrolled: 2-line block ×3, first 2 shown]
v_mfma_f32_32x32x8bf16_1k a[32+0:47+0], v[vgprValuB_X0_I0+2+0+0:vgprValuB_X0_I0+2+0+0+1], v[vgprValuA_X0_I0+0+0+0:vgprValuA_X0_I0+0+0+0+1], a[32:47]
/*  mfmaIndex:4  */
_ds_load_u16 v[vgprValuB_X1_I0+5], v[vgprLocalReadAddrB] offset:4096 // L -> Reg lro=1536 swapByteOffset=0 ti=64 vIdx=2 rIdx=2 oIdx=0 buffer=1 iui=0
_ds_load_u16_d16_hi v97, v[vgprLocalReadAddrB] offset:4480 // L -> Reg lro=1536 swapByteOffset=0 ti=64 vIdx=2 rIdx=3 oIdx=0 buffer=1 iui=0
/* localReadsVacancy: latencyLeft 9 */
_ds_load_u16 v[vgprValuA_X2_I0+0], v[vgprLocalReadAddrA] offset:4096 // L -> Reg lro=2048 swapByteOffset=0 ti=64 vIdx=0 rIdx=0 oIdx=0 buffer=2 iui=0
_ds_load_u16 v[vgprValuA_X2_I0+1], v[vgprLocalReadAddrA] offset:4608 // L -> Reg lro=2048 swapByteOffset=0 ti=64 vIdx=0 rIdx=2 oIdx=0 buffer=2 iui=0
_ds_load_u16 v[vgprValuB_X2_I0+0], v[vgprLocalReadAddrB] offset:6144 // L -> Reg lro=3072 swapByteOffset=0 ti=64 vIdx=0 rIdx=0 oIdx=0 buffer=2 iui=0
_ds_load_u16 v[vgprValuB_X2_I0+1], v[vgprLocalReadAddrB] offset:6912 // L -> Reg lro=3072 swapByteOffset=0 ti=64 vIdx=0 rIdx=2 oIdx=0 buffer=2 iui=0
v_mfma_f32_32x32x8bf16_1k a[64+0:79+0], v[vgprValuB_X0_I0+4+0+0:vgprValuB_X0_I0+4+0+0+1], v[vgprValuA_X0_I0+0+0+0:vgprValuA_X0_I0+0+0+0+1], a[64:79]
/*  mfmaIndex:5  */
/* localReadsVacancy: latencyLeft 13 */
_ds_load_u16 v[vgprValuA_X2_I0+2], v[vgprLocalReadAddrA] offset:4224 // L -> Reg lro=2048 swapByteOffset=0 ti=64 vIdx=1 rIdx=0 oIdx=0 buffer=2 iui=0
_ds_load_u16 v[vgprValuA_X2_I0+3], v[vgprLocalReadAddrA] offset:4736 // L -> Reg lro=2048 swapByteOffset=0 ti=64 vIdx=1 rIdx=2 oIdx=0 buffer=2 iui=0
_ds_load_u16 v[vgprValuB_X2_I0+2], v[vgprLocalReadAddrB] offset:6272 // L -> Reg lro=3072 swapByteOffset=0 ti=64 vIdx=1 rIdx=0 oIdx=0 buffer=2 iui=0
_ds_load_u16 v[vgprValuB_X2_I0+3], v[vgprLocalReadAddrB] offset:7040 // L -> Reg lro=3072 swapByteOffset=0 ti=64 vIdx=1 rIdx=2 oIdx=0 buffer=2 iui=0
	;; [unrolled: 1-line block ×4, first 2 shown]
v_mfma_f32_32x32x8bf16_1k a[80+0:95+0], v[vgprValuB_X0_I0+4+0+0:vgprValuB_X0_I0+4+0+0+1], v[vgprValuA_X0_I0+2+0+0:vgprValuA_X0_I0+2+0+0+1], a[80:95]
/* numPrefetchIter=0 */
/* dataAtIterA=-1 numReadsIterA=1 skipReadsIterA=1 readsPerIterA=8 */
/* dataAtIterB=-1 numReadsIterB=1 skipReadsIterB=1 readsPerIterB=12 */


/* iter 1 (last unrolled loop) */

/*  grEndMfmaIndex:0, lwStartMfmaIndex:18, lwEndMfmaIndex:18  */
/*  numMfmaForLR:4, barrierMfmaIndex:19, LocalWritePerMfma:0.670 */
/*  mfmaIndex:6  */
_ds_load_u16_d16_hi v78, v[vgprLocalReadAddrA] offset:4352 // L -> Reg lro=2048 swapByteOffset=0 ti=64 vIdx=0 rIdx=1 oIdx=0 buffer=2 iui=0
_ds_load_u16_d16_hi v79, v[vgprLocalReadAddrA] offset:4864 // L -> Reg lro=2048 swapByteOffset=0 ti=64 vIdx=0 rIdx=3 oIdx=0 buffer=2 iui=0
_ds_load_u16_d16_hi v82, v[vgprLocalReadAddrB] offset:6528 // L -> Reg lro=3072 swapByteOffset=0 ti=64 vIdx=0 rIdx=1 oIdx=0 buffer=2 iui=0
_ds_load_u16_d16_hi v83, v[vgprLocalReadAddrB] offset:7296 // L -> Reg lro=3072 swapByteOffset=0 ti=64 vIdx=0 rIdx=3 oIdx=0 buffer=2 iui=0
_ds_load_u16_d16_hi v80, v[vgprLocalReadAddrA] offset:4480 // L -> Reg lro=2048 swapByteOffset=0 ti=64 vIdx=1 rIdx=1 oIdx=0 buffer=2 iui=0
_ds_load_u16_d16_hi v81, v[vgprLocalReadAddrA] offset:4992 // L -> Reg lro=2048 swapByteOffset=0 ti=64 vIdx=1 rIdx=3 oIdx=0 buffer=2 iui=0
s_waitcnt lgkmcnt(15)                              // lgkmcnt=0 vmcnt=-1wait for prior local read local write old=10, new=16 newLW=0 newLR=6
/* pack scheduling: packAIdx:2, packBIdx:2 */
v_or_b32 v[vgprValuA_X1_I0+0], v[vgprValuA_X1_I0+0], v88 // pack two half Vgpr to one Vgpr
v_or_b32 v[vgprValuA_X1_I0+1], v[vgprValuA_X1_I0+1], v89 // pack two half Vgpr to one Vgpr
v_or_b32 v[vgprValuB_X1_I0+0], v[vgprValuB_X1_I0+0], v92 // pack two half Vgpr to one Vgpr
v_or_b32 v[vgprValuB_X1_I0+1], v[vgprValuB_X1_I0+1], v93 // pack two half Vgpr to one Vgpr
v_or_b32 v[vgprValuA_X1_I0+2], v[vgprValuA_X1_I0+2], v90 // pack two half Vgpr to one Vgpr
v_or_b32 v[vgprValuA_X1_I0+3], v[vgprValuA_X1_I0+3], v91 // pack two half Vgpr to one Vgpr
v_mfma_f32_32x32x8bf16_1k a[0+0:15+0], v[vgprValuB_X1_I0+0+0+0:vgprValuB_X1_I0+0+0+0+1], v[vgprValuA_X1_I0+0+0+0:vgprValuA_X1_I0+0+0+0+1], a[0:15]
/*  mfmaIndex:7  */
_ds_load_u16_d16_hi v84, v[vgprLocalReadAddrB] offset:6656 // L -> Reg lro=3072 swapByteOffset=0 ti=64 vIdx=1 rIdx=1 oIdx=0 buffer=2 iui=0
_ds_load_u16_d16_hi v85, v[vgprLocalReadAddrB] offset:7424 // L -> Reg lro=3072 swapByteOffset=0 ti=64 vIdx=1 rIdx=3 oIdx=0 buffer=2 iui=0
	;; [unrolled: 1-line block ×4, first 2 shown]
/* localReadsVacancy: latencyLeft 5 */
_ds_load_u16 v[vgprValuA_X3_I0+0], v[vgprLocalReadAddrA] offset:6144 // L -> Reg lro=3072 swapByteOffset=0 ti=64 vIdx=0 rIdx=0 oIdx=0 buffer=3 iui=0
_ds_load_u16 v[vgprValuA_X3_I0+1], v[vgprLocalReadAddrA] offset:6656 // L -> Reg lro=3072 swapByteOffset=0 ti=64 vIdx=0 rIdx=2 oIdx=0 buffer=3 iui=0
/* pack scheduling: packAIdx:4, packBIdx:2 */
v_or_b32 v[vgprValuB_X1_I0+2], v[vgprValuB_X1_I0+2], v94 // pack two half Vgpr to one Vgpr
v_or_b32 v[vgprValuB_X1_I0+3], v[vgprValuB_X1_I0+3], v95 // pack two half Vgpr to one Vgpr
	;; [unrolled: 1-line block ×4, first 2 shown]
v_mfma_f32_32x32x8bf16_1k a[16+0:31+0], v[vgprValuB_X1_I0+0+0+0:vgprValuB_X1_I0+0+0+0+1], v[vgprValuA_X1_I0+2+0+0:vgprValuA_X1_I0+2+0+0+1], a[16:31]
/*  mfmaIndex:8  */
/* localReadsVacancy: latencyLeft 13 */
_ds_load_u16 v[vgprValuB_X3_I0+0], v[vgprLocalReadAddrB] offset:9216 // L -> Reg lro=4608 swapByteOffset=0 ti=64 vIdx=0 rIdx=0 oIdx=0 buffer=3 iui=0
_ds_load_u16 v[vgprValuB_X3_I0+1], v[vgprLocalReadAddrB] offset:9984 // L -> Reg lro=4608 swapByteOffset=0 ti=64 vIdx=0 rIdx=2 oIdx=0 buffer=3 iui=0
_ds_load_u16 v[vgprValuA_X3_I0+2], v[vgprLocalReadAddrA] offset:6272 // L -> Reg lro=3072 swapByteOffset=0 ti=64 vIdx=1 rIdx=0 oIdx=0 buffer=3 iui=0
_ds_load_u16 v[vgprValuA_X3_I0+3], v[vgprLocalReadAddrA] offset:6784 // L -> Reg lro=3072 swapByteOffset=0 ti=64 vIdx=1 rIdx=2 oIdx=0 buffer=3 iui=0
_ds_load_u16 v[vgprValuB_X3_I0+2], v[vgprLocalReadAddrB] offset:9344 // L -> Reg lro=4608 swapByteOffset=0 ti=64 vIdx=1 rIdx=0 oIdx=0 buffer=3 iui=0
_ds_load_u16 v[vgprValuB_X3_I0+3], v[vgprLocalReadAddrB] offset:10112 // L -> Reg lro=4608 swapByteOffset=0 ti=64 vIdx=1 rIdx=2 oIdx=0 buffer=3 iui=0
v_mfma_f32_32x32x8bf16_1k a[48+0:63+0], v[vgprValuB_X1_I0+2+0+0:vgprValuB_X1_I0+2+0+0+1], v[vgprValuA_X1_I0+2+0+0:vgprValuA_X1_I0+2+0+0+1], a[48:63]
/*  mfmaIndex:9  */
/* localReadsVacancy: latencyLeft 13 */
_ds_load_u16 v[vgprValuB_X3_I0+4], v[vgprLocalReadAddrB] offset:9472 // L -> Reg lro=4608 swapByteOffset=0 ti=64 vIdx=2 rIdx=0 oIdx=0 buffer=3 iui=0
_ds_load_u16 v[vgprValuB_X3_I0+5], v[vgprLocalReadAddrB] offset:10240 // L -> Reg lro=4608 swapByteOffset=0 ti=64 vIdx=2 rIdx=2 oIdx=0 buffer=3 iui=0
v_mfma_f32_32x32x8bf16_1k a[32+0:47+0], v[vgprValuB_X1_I0+2+0+0:vgprValuB_X1_I0+2+0+0+1], v[vgprValuA_X1_I0+0+0+0:vgprValuA_X1_I0+0+0+0+1], a[32:47]
/*  mfmaIndex:10  */
/* localReadsVacancy: latencyLeft 13 */
v_mfma_f32_32x32x8bf16_1k a[64+0:79+0], v[vgprValuB_X1_I0+4+0+0:vgprValuB_X1_I0+4+0+0+1], v[vgprValuA_X1_I0+0+0+0:vgprValuA_X1_I0+0+0+0+1], a[64:79]
/*  mfmaIndex:11  */
/* localReadsVacancy: latencyLeft 13 */
v_mfma_f32_32x32x8bf16_1k a[80+0:95+0], v[vgprValuB_X1_I0+4+0+0:vgprValuB_X1_I0+4+0+0+1], v[vgprValuA_X1_I0+2+0+0:vgprValuA_X1_I0+2+0+0+1], a[80:95]
/* numPrefetchIter=0 */
/* dataAtIterA=0 numReadsIterA=2 skipReadsIterA=1 readsPerIterA=8 */
/* dataAtIterB=0 numReadsIterB=2 skipReadsIterB=1 readsPerIterB=12 */


/* iter 2 (last unrolled loop) */

/*  grEndMfmaIndex:0, lwStartMfmaIndex:18, lwEndMfmaIndex:18  */
/*  numMfmaForLR:4, barrierMfmaIndex:19, LocalWritePerMfma:0.670 */
/*  mfmaIndex:12  */
_ds_load_u16_d16_hi v88, v[vgprLocalReadAddrA] offset:6400 // L -> Reg lro=3072 swapByteOffset=0 ti=64 vIdx=0 rIdx=1 oIdx=0 buffer=3 iui=0
_ds_load_u16_d16_hi v89, v[vgprLocalReadAddrA] offset:6912 // L -> Reg lro=3072 swapByteOffset=0 ti=64 vIdx=0 rIdx=3 oIdx=0 buffer=3 iui=0
_ds_load_u16_d16_hi v92, v[vgprLocalReadAddrB] offset:9600 // L -> Reg lro=4608 swapByteOffset=0 ti=64 vIdx=0 rIdx=1 oIdx=0 buffer=3 iui=0
_ds_load_u16_d16_hi v93, v[vgprLocalReadAddrB] offset:10368 // L -> Reg lro=4608 swapByteOffset=0 ti=64 vIdx=0 rIdx=3 oIdx=0 buffer=3 iui=0
_ds_load_u16_d16_hi v90, v[vgprLocalReadAddrA] offset:6528 // L -> Reg lro=3072 swapByteOffset=0 ti=64 vIdx=1 rIdx=1 oIdx=0 buffer=3 iui=0
_ds_load_u16_d16_hi v91, v[vgprLocalReadAddrA] offset:7040 // L -> Reg lro=3072 swapByteOffset=0 ti=64 vIdx=1 rIdx=3 oIdx=0 buffer=3 iui=0
s_waitcnt lgkmcnt(15)                              // lgkmcnt=0 vmcnt=-1wait for prior local read local write old=10, new=16 newLW=0 newLR=6
/* pack scheduling: packAIdx:2, packBIdx:2 */
v_or_b32 v[vgprValuA_X2_I0+0], v[vgprValuA_X2_I0+0], v78 // pack two half Vgpr to one Vgpr
v_or_b32 v[vgprValuA_X2_I0+1], v[vgprValuA_X2_I0+1], v79 // pack two half Vgpr to one Vgpr
v_or_b32 v[vgprValuB_X2_I0+0], v[vgprValuB_X2_I0+0], v82 // pack two half Vgpr to one Vgpr
v_or_b32 v[vgprValuB_X2_I0+1], v[vgprValuB_X2_I0+1], v83 // pack two half Vgpr to one Vgpr
v_or_b32 v[vgprValuA_X2_I0+2], v[vgprValuA_X2_I0+2], v80 // pack two half Vgpr to one Vgpr
v_or_b32 v[vgprValuA_X2_I0+3], v[vgprValuA_X2_I0+3], v81 // pack two half Vgpr to one Vgpr
v_mfma_f32_32x32x8bf16_1k a[0+0:15+0], v[vgprValuB_X2_I0+0+0+0:vgprValuB_X2_I0+0+0+0+1], v[vgprValuA_X2_I0+0+0+0:vgprValuA_X2_I0+0+0+0+1], a[0:15]
/*  mfmaIndex:13  */
_ds_load_u16_d16_hi v94, v[vgprLocalReadAddrB] offset:9728 // L -> Reg lro=4608 swapByteOffset=0 ti=64 vIdx=1 rIdx=1 oIdx=0 buffer=3 iui=0
_ds_load_u16_d16_hi v95, v[vgprLocalReadAddrB] offset:10496 // L -> Reg lro=4608 swapByteOffset=0 ti=64 vIdx=1 rIdx=3 oIdx=0 buffer=3 iui=0
	;; [unrolled: 1-line block ×4, first 2 shown]
/* localReadsVacancy: latencyLeft 5 */
/* pack scheduling: packAIdx:4, packBIdx:2 */
v_or_b32 v[vgprValuB_X2_I0+2], v[vgprValuB_X2_I0+2], v84 // pack two half Vgpr to one Vgpr
v_or_b32 v[vgprValuB_X2_I0+3], v[vgprValuB_X2_I0+3], v85 // pack two half Vgpr to one Vgpr
	;; [unrolled: 1-line block ×4, first 2 shown]
v_mfma_f32_32x32x8bf16_1k a[16+0:31+0], v[vgprValuB_X2_I0+0+0+0:vgprValuB_X2_I0+0+0+0+1], v[vgprValuA_X2_I0+2+0+0:vgprValuA_X2_I0+2+0+0+1], a[16:31]
/*  mfmaIndex:14  */
/* localReadsVacancy: latencyLeft 13 */
v_mfma_f32_32x32x8bf16_1k a[48+0:63+0], v[vgprValuB_X2_I0+2+0+0:vgprValuB_X2_I0+2+0+0+1], v[vgprValuA_X2_I0+2+0+0:vgprValuA_X2_I0+2+0+0+1], a[48:63]
/*  mfmaIndex:15  */
/* localReadsVacancy: latencyLeft 13 */
	;; [unrolled: 3-line block ×4, first 2 shown]
v_mfma_f32_32x32x8bf16_1k a[80+0:95+0], v[vgprValuB_X2_I0+4+0+0:vgprValuB_X2_I0+4+0+0+1], v[vgprValuA_X2_I0+2+0+0:vgprValuA_X2_I0+2+0+0+1], a[80:95]
/* numPrefetchIter=0 */
/* dataAtIterA=1 numReadsIterA=3 skipReadsIterA=1 readsPerIterA=8 */
/* dataAtIterB=1 numReadsIterB=3 skipReadsIterB=1 readsPerIterB=12 */


/* iter 3 (last unrolled loop) */

/*  grEndMfmaIndex:0, lwStartMfmaIndex:18, lwEndMfmaIndex:18  */
/*  numMfmaForLR:4, barrierMfmaIndex:19, LocalWritePerMfma:0.670 */
/*  mfmaIndex:18  */
s_waitcnt lgkmcnt(0)                               // lgkmcnt=0 vmcnt=-1wait for prior local read local write old=0, new=0 newLW=0 newLR=0
/* pack scheduling: packAIdx:2, packBIdx:2 */
v_or_b32 v[vgprValuA_X3_I0+0], v[vgprValuA_X3_I0+0], v88 // pack two half Vgpr to one Vgpr
v_or_b32 v[vgprValuA_X3_I0+1], v[vgprValuA_X3_I0+1], v89 // pack two half Vgpr to one Vgpr
v_or_b32 v[vgprValuB_X3_I0+0], v[vgprValuB_X3_I0+0], v92 // pack two half Vgpr to one Vgpr
v_or_b32 v[vgprValuB_X3_I0+1], v[vgprValuB_X3_I0+1], v93 // pack two half Vgpr to one Vgpr
v_or_b32 v[vgprValuA_X3_I0+2], v[vgprValuA_X3_I0+2], v90 // pack two half Vgpr to one Vgpr
v_or_b32 v[vgprValuA_X3_I0+3], v[vgprValuA_X3_I0+3], v91 // pack two half Vgpr to one Vgpr
v_mfma_f32_32x32x8bf16_1k a[0+0:15+0], v[vgprValuB_X3_I0+0+0+0:vgprValuB_X3_I0+0+0+0+1], v[vgprValuA_X3_I0+0+0+0:vgprValuA_X3_I0+0+0+0+1], a[0:15]
/*  mfmaIndex:19  */
/* pack scheduling: packAIdx:4, packBIdx:2 */
v_or_b32 v[vgprValuB_X3_I0+2], v[vgprValuB_X3_I0+2], v94 // pack two half Vgpr to one Vgpr
v_or_b32 v[vgprValuB_X3_I0+3], v[vgprValuB_X3_I0+3], v95 // pack two half Vgpr to one Vgpr
	;; [unrolled: 1-line block ×4, first 2 shown]
v_mfma_f32_32x32x8bf16_1k a[16+0:31+0], v[vgprValuB_X3_I0+0+0+0:vgprValuB_X3_I0+0+0+0+1], v[vgprValuA_X3_I0+2+0+0:vgprValuA_X3_I0+2+0+0+1], a[16:31]
/*  mfmaIndex:20  */
v_mfma_f32_32x32x8bf16_1k a[48+0:63+0], v[vgprValuB_X3_I0+2+0+0:vgprValuB_X3_I0+2+0+0+1], v[vgprValuA_X3_I0+2+0+0:vgprValuA_X3_I0+2+0+0+1], a[48:63]
/*  mfmaIndex:21  */
	;; [unrolled: 2-line block ×4, first 2 shown]
v_mfma_f32_32x32x8bf16_1k a[80+0:95+0], v[vgprValuB_X3_I0+4+0+0:vgprValuB_X3_I0+4+0+0+1], v[vgprValuA_X3_I0+2+0+0:vgprValuA_X3_I0+2+0+0+1], a[80:95]
/* numPrefetchIter=0 */
/* dataAtIterA=2 numReadsIterA=3 skipReadsIterA=0 readsPerIterA=8 */
/* dataAtIterB=2 numReadsIterB=3 skipReadsIterB=0 readsPerIterB=12 */

PrefetchGlobalLastIterEnd_5:


/******************************************/
/* Tail Loop                              */
/******************************************/


/* local write reset offsets a */

v_and_b32 v[vgprLocalWriteAddrA], 0xf07fff, v[vgprLocalWriteAddrA] // reset to Red


/* local write reset offsets b */

v_and_b32 v[vgprLocalWriteAddrB], 0xf07fff, v[vgprLocalWriteAddrB] // reset to Red


//numIterL = (((sizeL % LOCAL_DEPTHU) + LOCAL_SPLITU - 1) / LOCAL_SPLITU)
s_and_b32 s[sgprLoopCounterL], 31, s[sgprSizesSum+0] // s[sgprLoopCounterL] = s[sgprSizesSum+0] % 32
s_cmp_lg_u32 s[sgprGSUSumIdx], s[sgprGSUSumIdx+1]  // gsuSumIdx == numIterPerWgRemainder
s_cmov_b32 s[sgprLoopCounterL], 0x0                // numIter=0 if gsuSumIdx!=remainder
s_cmp_eq_u32 s[sgprLoopCounterL], 0x0              // numIterL == 0
s_cbranch_scc1 SkipTailLoopL_8                     // skip to end of tail loop b/c numIter==0
s_mov_b32 s[sgprOrigLoopCounter], 0                // repurpose to count each localRead increment


/* Update M0 for DTLDS */


	;; [unrolled: 1-line block ×3, first 2 shown]
/* global read a */

/* g2l=0, load component 0 */
_buffer_load_d16_b16 v[vgprG2LA+0+0], v[vgprGlobalReadOffsetA+0], s[sgprSrdA:sgprSrdA+3], 0, offen offset:0 // load one buffer value
/* g2l=0, load component 1 */
_buffer_load_d16_hi_b16 v78, v[vgprGlobalReadOffsetA+0], s[sgprSrdA:sgprSrdA+3], 0, offen offset:2 // load one buffer value
s_waitcnt vmcnt(0)
v_or_b32 v[vgprG2LA+0+0], v[vgprG2LA+0+0], v78 // HasEccHalf: pack
/* g2l=0, load component 2 */
_buffer_load_d16_b16 v[vgprG2LA+0+1], v[vgprGlobalReadOffsetA+0], s[sgprSrdA:sgprSrdA+3], 0, offen offset:4 // load one buffer value
/* g2l=0, load component 3 */
_buffer_load_d16_hi_b16 v78, v[vgprGlobalReadOffsetA+0], s[sgprSrdA:sgprSrdA+3], 0, offen offset:6 // load one buffer value
s_waitcnt vmcnt(0)
v_or_b32 v[vgprG2LA+0+1], v[vgprG2LA+0+1], v78 // HasEccHalf: pack
	;; [unrolled: 6-line block ×8, first 2 shown]


/* Update M0 for DTLDS */


	;; [unrolled: 1-line block ×3, first 2 shown]
/* global read b */

/* g2l=0, load component 0 */
_buffer_load_d16_b16 v[vgprG2LB+0+0], v[vgprGlobalReadOffsetB+0], s[sgprSrdB:sgprSrdB+3], 0, offen offset:0 // load one buffer value
/* g2l=0, load component 1 */
_buffer_load_d16_hi_b16 v78, v[vgprGlobalReadOffsetB+0], s[sgprSrdB:sgprSrdB+3], 0, offen offset:2 // load one buffer value
s_waitcnt vmcnt(0)
v_or_b32 v[vgprG2LB+0+0], v[vgprG2LB+0+0], v78 // HasEccHalf: pack
/* g2l=0, load component 2 */
_buffer_load_d16_b16 v[vgprG2LB+0+1], v[vgprGlobalReadOffsetB+0], s[sgprSrdB:sgprSrdB+3], 0, offen offset:4 // load one buffer value
/* g2l=0, load component 3 */
_buffer_load_d16_hi_b16 v78, v[vgprGlobalReadOffsetB+0], s[sgprSrdB:sgprSrdB+3], 0, offen offset:6 // load one buffer value
s_waitcnt vmcnt(0)
v_or_b32 v[vgprG2LB+0+1], v[vgprG2LB+0+1], v78 // HasEccHalf: pack
	;; [unrolled: 6-line block ×12, first 2 shown]

s_waitcnt vmcnt(0)                                 // lgkmcnt=-1 vmcnt=02wait for global read

// Skip force waitcnt0
s_barrier //


/* Done global A/B reads */


	;; [unrolled: 1-line block ×4, first 2 shown]
/* local write a */

v_cvt_f32_f16 v[vgprG2Lpipe0], v[vgprG2LA+0]       // 
v_cmp_u_f32 s[sgprFp16AltNanCheck:sgprFp16AltNanCheck+1], v[vgprG2Lpipe0], v[vgprG2Lpipe0] // check NaN
v_add_u32 v[vgprFp16AltTmp], s[sgprFp16AltOffset], v[vgprG2Lpipe0] // 
v_cndmask_b32 v[vgprG2Lpipe0], v[vgprFp16AltTmp], v[vgprG2Lpipe0], s[sgprFp16AltNanCheck:sgprFp16AltNanCheck+1] // 
v_cvt_f32_f16 v[vgprG2Lpipe1], v[vgprG2LA+0], src0_sel:WORD_1 // 
v_cmp_u_f32 s[sgprFp16AltNanCheck:sgprFp16AltNanCheck+1], v[vgprG2Lpipe1], v[vgprG2Lpipe1] // check NaN
v_add_u32 v[vgprFp16AltTmp], s[sgprFp16AltOffset], v[vgprG2Lpipe1] // 
v_cndmask_b32 v[vgprG2Lpipe1], v[vgprFp16AltTmp], v[vgprG2Lpipe1], s[sgprFp16AltNanCheck:sgprFp16AltNanCheck+1] // 
v_pack_b32_f16 v[vgprG2LA+0], v[vgprG2Lpipe0], v[vgprG2Lpipe1], op_sel:[1,1,0] // 
v_cvt_f32_f16 v[vgprG2Lpipe0], v[vgprG2LA+1]       // 
v_cmp_u_f32 s[sgprFp16AltNanCheck:sgprFp16AltNanCheck+1], v[vgprG2Lpipe0], v[vgprG2Lpipe0] // check NaN
v_add_u32 v[vgprFp16AltTmp], s[sgprFp16AltOffset], v[vgprG2Lpipe0] // 
v_cndmask_b32 v[vgprG2Lpipe0], v[vgprFp16AltTmp], v[vgprG2Lpipe0], s[sgprFp16AltNanCheck:sgprFp16AltNanCheck+1] // 
v_cvt_f32_f16 v[vgprG2Lpipe1], v[vgprG2LA+1], src0_sel:WORD_1 // 
v_cmp_u_f32 s[sgprFp16AltNanCheck:sgprFp16AltNanCheck+1], v[vgprG2Lpipe1], v[vgprG2Lpipe1] // check NaN
v_add_u32 v[vgprFp16AltTmp], s[sgprFp16AltOffset], v[vgprG2Lpipe1] // 
v_cndmask_b32 v[vgprG2Lpipe1], v[vgprFp16AltTmp], v[vgprG2Lpipe1], s[sgprFp16AltNanCheck:sgprFp16AltNanCheck+1] // 
v_pack_b32_f16 v[vgprG2LA+1], v[vgprG2Lpipe0], v[vgprG2Lpipe1], op_sel:[1,1,0] // 
_ds_store_b64 v[vgprLocalWriteAddrA], v[vgprG2LA+0:vgprG2LA+0+1] offset:0 // lwoA_0_0_0_0 = (0*LSCA) + (0*LSPA)(*MT0I+PAD) = 0
v_cvt_f32_f16 v[vgprG2Lpipe0], v[vgprG2LA+2]       // 
v_cmp_u_f32 s[sgprFp16AltNanCheck:sgprFp16AltNanCheck+1], v[vgprG2Lpipe0], v[vgprG2Lpipe0] // check NaN
v_add_u32 v[vgprFp16AltTmp], s[sgprFp16AltOffset], v[vgprG2Lpipe0] // 
v_cndmask_b32 v[vgprG2Lpipe0], v[vgprFp16AltTmp], v[vgprG2Lpipe0], s[sgprFp16AltNanCheck:sgprFp16AltNanCheck+1] // 
v_cvt_f32_f16 v[vgprG2Lpipe1], v[vgprG2LA+2], src0_sel:WORD_1 // 
v_cmp_u_f32 s[sgprFp16AltNanCheck:sgprFp16AltNanCheck+1], v[vgprG2Lpipe1], v[vgprG2Lpipe1] // check NaN
v_add_u32 v[vgprFp16AltTmp], s[sgprFp16AltOffset], v[vgprG2Lpipe1] // 
v_cndmask_b32 v[vgprG2Lpipe1], v[vgprFp16AltTmp], v[vgprG2Lpipe1], s[sgprFp16AltNanCheck:sgprFp16AltNanCheck+1] // 
v_pack_b32_f16 v[vgprG2LA+2], v[vgprG2Lpipe0], v[vgprG2Lpipe1], op_sel:[1,1,0] // 
v_cvt_f32_f16 v[vgprG2Lpipe0], v[vgprG2LA+3]       // 
v_cmp_u_f32 s[sgprFp16AltNanCheck:sgprFp16AltNanCheck+1], v[vgprG2Lpipe0], v[vgprG2Lpipe0] // check NaN
v_add_u32 v[vgprFp16AltTmp], s[sgprFp16AltOffset], v[vgprG2Lpipe0] // 
v_cndmask_b32 v[vgprG2Lpipe0], v[vgprFp16AltTmp], v[vgprG2Lpipe0], s[sgprFp16AltNanCheck:sgprFp16AltNanCheck+1] // 
v_cvt_f32_f16 v[vgprG2Lpipe1], v[vgprG2LA+3], src0_sel:WORD_1 // 
v_cmp_u_f32 s[sgprFp16AltNanCheck:sgprFp16AltNanCheck+1], v[vgprG2Lpipe1], v[vgprG2Lpipe1] // check NaN
v_add_u32 v[vgprFp16AltTmp], s[sgprFp16AltOffset], v[vgprG2Lpipe1] // 
v_cndmask_b32 v[vgprG2Lpipe1], v[vgprFp16AltTmp], v[vgprG2Lpipe1], s[sgprFp16AltNanCheck:sgprFp16AltNanCheck+1] // 
v_pack_b32_f16 v[vgprG2LA+3], v[vgprG2Lpipe0], v[vgprG2Lpipe1], op_sel:[1,1,0] // 
_ds_store_b64 v[vgprLocalWriteAddrA], v[vgprG2LA+2:vgprG2LA+2+1] offset:2048 // lwoA_0_0_1_0 = (0*LSCA) + (1*LSPA)(*MT0I+PAD) = 2048
v_cvt_f32_f16 v[vgprG2Lpipe0], v[vgprG2LA+4]       // 
v_cmp_u_f32 s[sgprFp16AltNanCheck:sgprFp16AltNanCheck+1], v[vgprG2Lpipe0], v[vgprG2Lpipe0] // check NaN
v_add_u32 v[vgprFp16AltTmp], s[sgprFp16AltOffset], v[vgprG2Lpipe0] // 
v_cndmask_b32 v[vgprG2Lpipe0], v[vgprFp16AltTmp], v[vgprG2Lpipe0], s[sgprFp16AltNanCheck:sgprFp16AltNanCheck+1] // 
v_cvt_f32_f16 v[vgprG2Lpipe1], v[vgprG2LA+4], src0_sel:WORD_1 // 
v_cmp_u_f32 s[sgprFp16AltNanCheck:sgprFp16AltNanCheck+1], v[vgprG2Lpipe1], v[vgprG2Lpipe1] // check NaN
v_add_u32 v[vgprFp16AltTmp], s[sgprFp16AltOffset], v[vgprG2Lpipe1] // 
v_cndmask_b32 v[vgprG2Lpipe1], v[vgprFp16AltTmp], v[vgprG2Lpipe1], s[sgprFp16AltNanCheck:sgprFp16AltNanCheck+1] // 
v_pack_b32_f16 v[vgprG2LA+4], v[vgprG2Lpipe0], v[vgprG2Lpipe1], op_sel:[1,1,0] // 
v_cvt_f32_f16 v[vgprG2Lpipe0], v[vgprG2LA+5]       // 
v_cmp_u_f32 s[sgprFp16AltNanCheck:sgprFp16AltNanCheck+1], v[vgprG2Lpipe0], v[vgprG2Lpipe0] // check NaN
v_add_u32 v[vgprFp16AltTmp], s[sgprFp16AltOffset], v[vgprG2Lpipe0] // 
v_cndmask_b32 v[vgprG2Lpipe0], v[vgprFp16AltTmp], v[vgprG2Lpipe0], s[sgprFp16AltNanCheck:sgprFp16AltNanCheck+1] // 
v_cvt_f32_f16 v[vgprG2Lpipe1], v[vgprG2LA+5], src0_sel:WORD_1 // 
v_cmp_u_f32 s[sgprFp16AltNanCheck:sgprFp16AltNanCheck+1], v[vgprG2Lpipe1], v[vgprG2Lpipe1] // check NaN
v_add_u32 v[vgprFp16AltTmp], s[sgprFp16AltOffset], v[vgprG2Lpipe1] // 
v_cndmask_b32 v[vgprG2Lpipe1], v[vgprFp16AltTmp], v[vgprG2Lpipe1], s[sgprFp16AltNanCheck:sgprFp16AltNanCheck+1] // 
v_pack_b32_f16 v[vgprG2LA+5], v[vgprG2Lpipe0], v[vgprG2Lpipe1], op_sel:[1,1,0] // 
_ds_store_b64 v[vgprLocalWriteAddrA], v[vgprG2LA+4:vgprG2LA+4+1] offset:4096 // lwoA_0_0_2_0 = (0*LSCA) + (2*LSPA)(*MT0I+PAD) = 4096
v_cvt_f32_f16 v[vgprG2Lpipe0], v[vgprG2LA+6]       // 
v_cmp_u_f32 s[sgprFp16AltNanCheck:sgprFp16AltNanCheck+1], v[vgprG2Lpipe0], v[vgprG2Lpipe0] // check NaN
v_add_u32 v[vgprFp16AltTmp], s[sgprFp16AltOffset], v[vgprG2Lpipe0] // 
v_cndmask_b32 v[vgprG2Lpipe0], v[vgprFp16AltTmp], v[vgprG2Lpipe0], s[sgprFp16AltNanCheck:sgprFp16AltNanCheck+1] // 
v_cvt_f32_f16 v[vgprG2Lpipe1], v[vgprG2LA+6], src0_sel:WORD_1 // 
v_cmp_u_f32 s[sgprFp16AltNanCheck:sgprFp16AltNanCheck+1], v[vgprG2Lpipe1], v[vgprG2Lpipe1] // check NaN
v_add_u32 v[vgprFp16AltTmp], s[sgprFp16AltOffset], v[vgprG2Lpipe1] // 
v_cndmask_b32 v[vgprG2Lpipe1], v[vgprFp16AltTmp], v[vgprG2Lpipe1], s[sgprFp16AltNanCheck:sgprFp16AltNanCheck+1] // 
v_pack_b32_f16 v[vgprG2LA+6], v[vgprG2Lpipe0], v[vgprG2Lpipe1], op_sel:[1,1,0] // 
v_cvt_f32_f16 v[vgprG2Lpipe0], v[vgprG2LA+7]       // 
v_cmp_u_f32 s[sgprFp16AltNanCheck:sgprFp16AltNanCheck+1], v[vgprG2Lpipe0], v[vgprG2Lpipe0] // check NaN
v_add_u32 v[vgprFp16AltTmp], s[sgprFp16AltOffset], v[vgprG2Lpipe0] // 
v_cndmask_b32 v[vgprG2Lpipe0], v[vgprFp16AltTmp], v[vgprG2Lpipe0], s[sgprFp16AltNanCheck:sgprFp16AltNanCheck+1] // 
v_cvt_f32_f16 v[vgprG2Lpipe1], v[vgprG2LA+7], src0_sel:WORD_1 // 
v_cmp_u_f32 s[sgprFp16AltNanCheck:sgprFp16AltNanCheck+1], v[vgprG2Lpipe1], v[vgprG2Lpipe1] // check NaN
v_add_u32 v[vgprFp16AltTmp], s[sgprFp16AltOffset], v[vgprG2Lpipe1] // 
v_cndmask_b32 v[vgprG2Lpipe1], v[vgprFp16AltTmp], v[vgprG2Lpipe1], s[sgprFp16AltNanCheck:sgprFp16AltNanCheck+1] // 
v_pack_b32_f16 v[vgprG2LA+7], v[vgprG2Lpipe0], v[vgprG2Lpipe1], op_sel:[1,1,0] // 
_ds_store_b64 v[vgprLocalWriteAddrA], v[vgprG2LA+6:vgprG2LA+6+1] offset:6144 // lwoA_0_0_3_0 = (0*LSCA) + (3*LSPA)(*MT0I+PAD) = 6144


/* local write b */

v_cvt_f32_f16 v[vgprG2Lpipe0], v[vgprG2LB+0]       // 
v_cmp_u_f32 s[sgprFp16AltNanCheck:sgprFp16AltNanCheck+1], v[vgprG2Lpipe0], v[vgprG2Lpipe0] // check NaN
v_add_u32 v[vgprFp16AltTmp], s[sgprFp16AltOffset], v[vgprG2Lpipe0] // 
v_cndmask_b32 v[vgprG2Lpipe0], v[vgprFp16AltTmp], v[vgprG2Lpipe0], s[sgprFp16AltNanCheck:sgprFp16AltNanCheck+1] // 
v_cvt_f32_f16 v[vgprG2Lpipe1], v[vgprG2LB+0], src0_sel:WORD_1 // 
v_cmp_u_f32 s[sgprFp16AltNanCheck:sgprFp16AltNanCheck+1], v[vgprG2Lpipe1], v[vgprG2Lpipe1] // check NaN
v_add_u32 v[vgprFp16AltTmp], s[sgprFp16AltOffset], v[vgprG2Lpipe1] // 
v_cndmask_b32 v[vgprG2Lpipe1], v[vgprFp16AltTmp], v[vgprG2Lpipe1], s[sgprFp16AltNanCheck:sgprFp16AltNanCheck+1] // 
v_pack_b32_f16 v[vgprG2LB+0], v[vgprG2Lpipe0], v[vgprG2Lpipe1], op_sel:[1,1,0] // 
v_cvt_f32_f16 v[vgprG2Lpipe0], v[vgprG2LB+1]       // 
v_cmp_u_f32 s[sgprFp16AltNanCheck:sgprFp16AltNanCheck+1], v[vgprG2Lpipe0], v[vgprG2Lpipe0] // check NaN
v_add_u32 v[vgprFp16AltTmp], s[sgprFp16AltOffset], v[vgprG2Lpipe0] // 
v_cndmask_b32 v[vgprG2Lpipe0], v[vgprFp16AltTmp], v[vgprG2Lpipe0], s[sgprFp16AltNanCheck:sgprFp16AltNanCheck+1] // 
v_cvt_f32_f16 v[vgprG2Lpipe1], v[vgprG2LB+1], src0_sel:WORD_1 // 
v_cmp_u_f32 s[sgprFp16AltNanCheck:sgprFp16AltNanCheck+1], v[vgprG2Lpipe1], v[vgprG2Lpipe1] // check NaN
v_add_u32 v[vgprFp16AltTmp], s[sgprFp16AltOffset], v[vgprG2Lpipe1] // 
v_cndmask_b32 v[vgprG2Lpipe1], v[vgprFp16AltTmp], v[vgprG2Lpipe1], s[sgprFp16AltNanCheck:sgprFp16AltNanCheck+1] // 
v_pack_b32_f16 v[vgprG2LB+1], v[vgprG2Lpipe0], v[vgprG2Lpipe1], op_sel:[1,1,0] // 
_ds_store_b64 v[vgprLocalWriteAddrB], v[vgprG2LB+0:vgprG2LB+0+1] offset:0 // lwoB_0_0_0_0 = (0*LSCB) + (0*LSPB)(*MT1J+PAD) = 0
v_cvt_f32_f16 v[vgprG2Lpipe0], v[vgprG2LB+2]       // 
v_cmp_u_f32 s[sgprFp16AltNanCheck:sgprFp16AltNanCheck+1], v[vgprG2Lpipe0], v[vgprG2Lpipe0] // check NaN
v_add_u32 v[vgprFp16AltTmp], s[sgprFp16AltOffset], v[vgprG2Lpipe0] // 
v_cndmask_b32 v[vgprG2Lpipe0], v[vgprFp16AltTmp], v[vgprG2Lpipe0], s[sgprFp16AltNanCheck:sgprFp16AltNanCheck+1] // 
v_cvt_f32_f16 v[vgprG2Lpipe1], v[vgprG2LB+2], src0_sel:WORD_1 // 
v_cmp_u_f32 s[sgprFp16AltNanCheck:sgprFp16AltNanCheck+1], v[vgprG2Lpipe1], v[vgprG2Lpipe1] // check NaN
v_add_u32 v[vgprFp16AltTmp], s[sgprFp16AltOffset], v[vgprG2Lpipe1] // 
v_cndmask_b32 v[vgprG2Lpipe1], v[vgprFp16AltTmp], v[vgprG2Lpipe1], s[sgprFp16AltNanCheck:sgprFp16AltNanCheck+1] // 
v_pack_b32_f16 v[vgprG2LB+2], v[vgprG2Lpipe0], v[vgprG2Lpipe1], op_sel:[1,1,0] // 
v_cvt_f32_f16 v[vgprG2Lpipe0], v[vgprG2LB+3]       // 
v_cmp_u_f32 s[sgprFp16AltNanCheck:sgprFp16AltNanCheck+1], v[vgprG2Lpipe0], v[vgprG2Lpipe0] // check NaN
v_add_u32 v[vgprFp16AltTmp], s[sgprFp16AltOffset], v[vgprG2Lpipe0] // 
v_cndmask_b32 v[vgprG2Lpipe0], v[vgprFp16AltTmp], v[vgprG2Lpipe0], s[sgprFp16AltNanCheck:sgprFp16AltNanCheck+1] // 
v_cvt_f32_f16 v[vgprG2Lpipe1], v[vgprG2LB+3], src0_sel:WORD_1 // 
v_cmp_u_f32 s[sgprFp16AltNanCheck:sgprFp16AltNanCheck+1], v[vgprG2Lpipe1], v[vgprG2Lpipe1] // check NaN
v_add_u32 v[vgprFp16AltTmp], s[sgprFp16AltOffset], v[vgprG2Lpipe1] // 
v_cndmask_b32 v[vgprG2Lpipe1], v[vgprFp16AltTmp], v[vgprG2Lpipe1], s[sgprFp16AltNanCheck:sgprFp16AltNanCheck+1] // 
v_pack_b32_f16 v[vgprG2LB+3], v[vgprG2Lpipe0], v[vgprG2Lpipe1], op_sel:[1,1,0] // 
_ds_store_b64 v[vgprLocalWriteAddrB], v[vgprG2LB+2:vgprG2LB+2+1] offset:128 // lwoB_1_0_0_0 = (1*LSCB) + (0*LSPB)(*MT1J+PAD) = 128
v_cvt_f32_f16 v[vgprG2Lpipe0], v[vgprG2LB+4]       // 
v_cmp_u_f32 s[sgprFp16AltNanCheck:sgprFp16AltNanCheck+1], v[vgprG2Lpipe0], v[vgprG2Lpipe0] // check NaN
v_add_u32 v[vgprFp16AltTmp], s[sgprFp16AltOffset], v[vgprG2Lpipe0] // 
v_cndmask_b32 v[vgprG2Lpipe0], v[vgprFp16AltTmp], v[vgprG2Lpipe0], s[sgprFp16AltNanCheck:sgprFp16AltNanCheck+1] // 
v_cvt_f32_f16 v[vgprG2Lpipe1], v[vgprG2LB+4], src0_sel:WORD_1 // 
v_cmp_u_f32 s[sgprFp16AltNanCheck:sgprFp16AltNanCheck+1], v[vgprG2Lpipe1], v[vgprG2Lpipe1] // check NaN
v_add_u32 v[vgprFp16AltTmp], s[sgprFp16AltOffset], v[vgprG2Lpipe1] // 
v_cndmask_b32 v[vgprG2Lpipe1], v[vgprFp16AltTmp], v[vgprG2Lpipe1], s[sgprFp16AltNanCheck:sgprFp16AltNanCheck+1] // 
v_pack_b32_f16 v[vgprG2LB+4], v[vgprG2Lpipe0], v[vgprG2Lpipe1], op_sel:[1,1,0] // 
v_cvt_f32_f16 v[vgprG2Lpipe0], v[vgprG2LB+5]       // 
v_cmp_u_f32 s[sgprFp16AltNanCheck:sgprFp16AltNanCheck+1], v[vgprG2Lpipe0], v[vgprG2Lpipe0] // check NaN
v_add_u32 v[vgprFp16AltTmp], s[sgprFp16AltOffset], v[vgprG2Lpipe0] // 
v_cndmask_b32 v[vgprG2Lpipe0], v[vgprFp16AltTmp], v[vgprG2Lpipe0], s[sgprFp16AltNanCheck:sgprFp16AltNanCheck+1] // 
v_cvt_f32_f16 v[vgprG2Lpipe1], v[vgprG2LB+5], src0_sel:WORD_1 // 
v_cmp_u_f32 s[sgprFp16AltNanCheck:sgprFp16AltNanCheck+1], v[vgprG2Lpipe1], v[vgprG2Lpipe1] // check NaN
v_add_u32 v[vgprFp16AltTmp], s[sgprFp16AltOffset], v[vgprG2Lpipe1] // 
v_cndmask_b32 v[vgprG2Lpipe1], v[vgprFp16AltTmp], v[vgprG2Lpipe1], s[sgprFp16AltNanCheck:sgprFp16AltNanCheck+1] // 
v_pack_b32_f16 v[vgprG2LB+5], v[vgprG2Lpipe0], v[vgprG2Lpipe1], op_sel:[1,1,0] // 
_ds_store_b64 v[vgprLocalWriteAddrB], v[vgprG2LB+4:vgprG2LB+4+1] offset:256 // lwoB_2_0_0_0 = (2*LSCB) + (0*LSPB)(*MT1J+PAD) = 256
v_cvt_f32_f16 v[vgprG2Lpipe0], v[vgprG2LB+6]       // 
v_cmp_u_f32 s[sgprFp16AltNanCheck:sgprFp16AltNanCheck+1], v[vgprG2Lpipe0], v[vgprG2Lpipe0] // check NaN
v_add_u32 v[vgprFp16AltTmp], s[sgprFp16AltOffset], v[vgprG2Lpipe0] // 
v_cndmask_b32 v[vgprG2Lpipe0], v[vgprFp16AltTmp], v[vgprG2Lpipe0], s[sgprFp16AltNanCheck:sgprFp16AltNanCheck+1] // 
v_cvt_f32_f16 v[vgprG2Lpipe1], v[vgprG2LB+6], src0_sel:WORD_1 // 
v_cmp_u_f32 s[sgprFp16AltNanCheck:sgprFp16AltNanCheck+1], v[vgprG2Lpipe1], v[vgprG2Lpipe1] // check NaN
v_add_u32 v[vgprFp16AltTmp], s[sgprFp16AltOffset], v[vgprG2Lpipe1] // 
v_cndmask_b32 v[vgprG2Lpipe1], v[vgprFp16AltTmp], v[vgprG2Lpipe1], s[sgprFp16AltNanCheck:sgprFp16AltNanCheck+1] // 
v_pack_b32_f16 v[vgprG2LB+6], v[vgprG2Lpipe0], v[vgprG2Lpipe1], op_sel:[1,1,0] // 
v_cvt_f32_f16 v[vgprG2Lpipe0], v[vgprG2LB+7]       // 
v_cmp_u_f32 s[sgprFp16AltNanCheck:sgprFp16AltNanCheck+1], v[vgprG2Lpipe0], v[vgprG2Lpipe0] // check NaN
v_add_u32 v[vgprFp16AltTmp], s[sgprFp16AltOffset], v[vgprG2Lpipe0] // 
v_cndmask_b32 v[vgprG2Lpipe0], v[vgprFp16AltTmp], v[vgprG2Lpipe0], s[sgprFp16AltNanCheck:sgprFp16AltNanCheck+1] // 
v_cvt_f32_f16 v[vgprG2Lpipe1], v[vgprG2LB+7], src0_sel:WORD_1 // 
v_cmp_u_f32 s[sgprFp16AltNanCheck:sgprFp16AltNanCheck+1], v[vgprG2Lpipe1], v[vgprG2Lpipe1] // check NaN
v_add_u32 v[vgprFp16AltTmp], s[sgprFp16AltOffset], v[vgprG2Lpipe1] // 
v_cndmask_b32 v[vgprG2Lpipe1], v[vgprFp16AltTmp], v[vgprG2Lpipe1], s[sgprFp16AltNanCheck:sgprFp16AltNanCheck+1] // 
v_pack_b32_f16 v[vgprG2LB+7], v[vgprG2Lpipe0], v[vgprG2Lpipe1], op_sel:[1,1,0] // 
_ds_store_b64 v[vgprLocalWriteAddrB], v[vgprG2LB+6:vgprG2LB+6+1] offset:6144 // lwoB_0_0_1_0 = (0*LSCB) + (1*LSPB)(*MT1J+PAD) = 6144
v_cvt_f32_f16 v[vgprG2Lpipe0], v[vgprG2LB+8]       // 
v_cmp_u_f32 s[sgprFp16AltNanCheck:sgprFp16AltNanCheck+1], v[vgprG2Lpipe0], v[vgprG2Lpipe0] // check NaN
v_add_u32 v[vgprFp16AltTmp], s[sgprFp16AltOffset], v[vgprG2Lpipe0] // 
v_cndmask_b32 v[vgprG2Lpipe0], v[vgprFp16AltTmp], v[vgprG2Lpipe0], s[sgprFp16AltNanCheck:sgprFp16AltNanCheck+1] // 
v_cvt_f32_f16 v[vgprG2Lpipe1], v[vgprG2LB+8], src0_sel:WORD_1 // 
v_cmp_u_f32 s[sgprFp16AltNanCheck:sgprFp16AltNanCheck+1], v[vgprG2Lpipe1], v[vgprG2Lpipe1] // check NaN
v_add_u32 v[vgprFp16AltTmp], s[sgprFp16AltOffset], v[vgprG2Lpipe1] // 
v_cndmask_b32 v[vgprG2Lpipe1], v[vgprFp16AltTmp], v[vgprG2Lpipe1], s[sgprFp16AltNanCheck:sgprFp16AltNanCheck+1] // 
v_pack_b32_f16 v[vgprG2LB+8], v[vgprG2Lpipe0], v[vgprG2Lpipe1], op_sel:[1,1,0] // 
v_cvt_f32_f16 v[vgprG2Lpipe0], v[vgprG2LB+9]       // 
v_cmp_u_f32 s[sgprFp16AltNanCheck:sgprFp16AltNanCheck+1], v[vgprG2Lpipe0], v[vgprG2Lpipe0] // check NaN
v_add_u32 v[vgprFp16AltTmp], s[sgprFp16AltOffset], v[vgprG2Lpipe0] // 
v_cndmask_b32 v[vgprG2Lpipe0], v[vgprFp16AltTmp], v[vgprG2Lpipe0], s[sgprFp16AltNanCheck:sgprFp16AltNanCheck+1] // 
v_cvt_f32_f16 v[vgprG2Lpipe1], v[vgprG2LB+9], src0_sel:WORD_1 // 
v_cmp_u_f32 s[sgprFp16AltNanCheck:sgprFp16AltNanCheck+1], v[vgprG2Lpipe1], v[vgprG2Lpipe1] // check NaN
v_add_u32 v[vgprFp16AltTmp], s[sgprFp16AltOffset], v[vgprG2Lpipe1] // 
v_cndmask_b32 v[vgprG2Lpipe1], v[vgprFp16AltTmp], v[vgprG2Lpipe1], s[sgprFp16AltNanCheck:sgprFp16AltNanCheck+1] // 
v_pack_b32_f16 v[vgprG2LB+9], v[vgprG2Lpipe0], v[vgprG2Lpipe1], op_sel:[1,1,0] // 
_ds_store_b64 v[vgprLocalWriteAddrB], v[vgprG2LB+8:vgprG2LB+8+1] offset:6272 // lwoB_1_0_1_0 = (1*LSCB) + (1*LSPB)(*MT1J+PAD) = 6272
v_cvt_f32_f16 v[vgprG2Lpipe0], v[vgprG2LB+10]      // 
v_cmp_u_f32 s[sgprFp16AltNanCheck:sgprFp16AltNanCheck+1], v[vgprG2Lpipe0], v[vgprG2Lpipe0] // check NaN
v_add_u32 v[vgprFp16AltTmp], s[sgprFp16AltOffset], v[vgprG2Lpipe0] // 
v_cndmask_b32 v[vgprG2Lpipe0], v[vgprFp16AltTmp], v[vgprG2Lpipe0], s[sgprFp16AltNanCheck:sgprFp16AltNanCheck+1] // 
v_cvt_f32_f16 v[vgprG2Lpipe1], v[vgprG2LB+10], src0_sel:WORD_1 // 
v_cmp_u_f32 s[sgprFp16AltNanCheck:sgprFp16AltNanCheck+1], v[vgprG2Lpipe1], v[vgprG2Lpipe1] // check NaN
v_add_u32 v[vgprFp16AltTmp], s[sgprFp16AltOffset], v[vgprG2Lpipe1] // 
v_cndmask_b32 v[vgprG2Lpipe1], v[vgprFp16AltTmp], v[vgprG2Lpipe1], s[sgprFp16AltNanCheck:sgprFp16AltNanCheck+1] // 
v_pack_b32_f16 v[vgprG2LB+10], v[vgprG2Lpipe0], v[vgprG2Lpipe1], op_sel:[1,1,0] // 
v_cvt_f32_f16 v[vgprG2Lpipe0], v[vgprG2LB+11]      // 
v_cmp_u_f32 s[sgprFp16AltNanCheck:sgprFp16AltNanCheck+1], v[vgprG2Lpipe0], v[vgprG2Lpipe0] // check NaN
v_add_u32 v[vgprFp16AltTmp], s[sgprFp16AltOffset], v[vgprG2Lpipe0] // 
v_cndmask_b32 v[vgprG2Lpipe0], v[vgprFp16AltTmp], v[vgprG2Lpipe0], s[sgprFp16AltNanCheck:sgprFp16AltNanCheck+1] // 
v_cvt_f32_f16 v[vgprG2Lpipe1], v[vgprG2LB+11], src0_sel:WORD_1 // 
v_cmp_u_f32 s[sgprFp16AltNanCheck:sgprFp16AltNanCheck+1], v[vgprG2Lpipe1], v[vgprG2Lpipe1] // check NaN
v_add_u32 v[vgprFp16AltTmp], s[sgprFp16AltOffset], v[vgprG2Lpipe1] // 
v_cndmask_b32 v[vgprG2Lpipe1], v[vgprFp16AltTmp], v[vgprG2Lpipe1], s[sgprFp16AltNanCheck:sgprFp16AltNanCheck+1] // 
v_pack_b32_f16 v[vgprG2LB+11], v[vgprG2Lpipe0], v[vgprG2Lpipe1], op_sel:[1,1,0] // 
_ds_store_b64 v[vgprLocalWriteAddrB], v[vgprG2LB+10:vgprG2LB+10+1] offset:6400 // lwoB_2_0_1_0 = (2*LSCB) + (1*LSPB)(*MT1J+PAD) = 6400


/* Recalc local read offsets */


s_waitcnt lgkmcnt(0)                               // lgkmcnt=0 vmcnt=-15wait for local write

// Skip force waitcnt0
s_barrier //


/* local read reset offsets a */


/* localReadResetOffsets */
/* handled internally */
v_and_b32 v[vgprLocalReadAddrA], 0x7fff, v[vgprLocalReadAddrA] // reset Red,Blk -> Red


/* local read reset offsets b */


/* localReadResetOffsets */
/* handled internally */
v_and_b32 v[vgprLocalReadAddrB], 0x7fff, v[vgprLocalReadAddrB] // reset Red,Blk -> Red


/* local read init pointers a */


/* localReadInitPointers */


/* local read init pointers b */


/* localReadInitPointers */


/* tail loop: macs */

TailLoopBeginL_6:


/* local read a */

_ds_load_u16 v[vgprValuA_X0_I0+0], v[vgprLocalReadAddrA] offset:0 // L -> Reg lro=0 swapByteOffset=0 ti=64 vIdx=0 rIdx=0 oIdx=0 buffer=0 iui=0
_ds_load_u16_d16_hi v78, v[vgprLocalReadAddrA] offset:256 // L -> Reg lro=0 swapByteOffset=0 ti=64 vIdx=0 rIdx=1 oIdx=0 buffer=0 iui=0
_ds_load_u16 v[vgprValuA_X0_I0+1], v[vgprLocalReadAddrA] offset:512 // L -> Reg lro=0 swapByteOffset=0 ti=64 vIdx=0 rIdx=2 oIdx=0 buffer=0 iui=0
_ds_load_u16_d16_hi v79, v[vgprLocalReadAddrA] offset:768 // L -> Reg lro=0 swapByteOffset=0 ti=64 vIdx=0 rIdx=3 oIdx=0 buffer=0 iui=0
	;; [unrolled: 2-line block ×4, first 2 shown]


/* local read b */

_ds_load_u16 v[vgprValuB_X0_I0+0], v[vgprLocalReadAddrB] offset:0 // L -> Reg lro=0 swapByteOffset=0 ti=64 vIdx=0 rIdx=0 oIdx=0 buffer=0 iui=0
_ds_load_u16_d16_hi v82, v[vgprLocalReadAddrB] offset:384 // L -> Reg lro=0 swapByteOffset=0 ti=64 vIdx=0 rIdx=1 oIdx=0 buffer=0 iui=0
_ds_load_u16 v[vgprValuB_X0_I0+1], v[vgprLocalReadAddrB] offset:768 // L -> Reg lro=0 swapByteOffset=0 ti=64 vIdx=0 rIdx=2 oIdx=0 buffer=0 iui=0
_ds_load_u16_d16_hi v83, v[vgprLocalReadAddrB] offset:1152 // L -> Reg lro=0 swapByteOffset=0 ti=64 vIdx=0 rIdx=3 oIdx=0 buffer=0 iui=0
	;; [unrolled: 2-line block ×6, first 2 shown]


/* local read inc a */

s_mov_b32 s10, 0x800                               // inc
_v_add_co_u32 v[vgprLocalReadAddrA], vcc, s10, v[vgprLocalReadAddrA] // lrA += 2048 (LSU*(MT+PAD)*bpe)


/* local read inc b */

s_mov_b32 s10, 0xc00                               // inc
_v_add_co_u32 v[vgprLocalReadAddrB], vcc, s10, v[vgprLocalReadAddrB] // lrB += 3072 (LSU*(MT+PAD)*bpe)

s_waitcnt lgkmcnt(0)                               // lgkmcnt=0 vmcnt=-14wait for local read

v_or_b32 v[vgprValuA_X0_I0+0], v[vgprValuA_X0_I0+0], v78 // pack two half Vgpr to one Vgpr
v_or_b32 v[vgprValuA_X0_I0+1], v[vgprValuA_X0_I0+1], v79 // pack two half Vgpr to one Vgpr
	;; [unrolled: 1-line block ×4, first 2 shown]
v_or_b32 v[vgprValuB_X0_I0+0], v[vgprValuB_X0_I0+0], v82 // pack two half Vgpr to one Vgpr
v_or_b32 v[vgprValuB_X0_I0+1], v[vgprValuB_X0_I0+1], v83 // pack two half Vgpr to one Vgpr
	;; [unrolled: 1-line block ×6, first 2 shown]

s_nop 1
v_mfma_f32_32x32x8bf16_1k a[0+0:15+0], v[vgprValuB_X0_I0+0+0+0:vgprValuB_X0_I0+0+0+0+1], v[vgprValuA_X0_I0+0+0+0:vgprValuA_X0_I0+0+0+0+1], a[0:15]
v_mfma_f32_32x32x8bf16_1k a[16+0:31+0], v[vgprValuB_X0_I0+0+0+0:vgprValuB_X0_I0+0+0+0+1], v[vgprValuA_X0_I0+2+0+0:vgprValuA_X0_I0+2+0+0+1], a[16:31]
	;; [unrolled: 1-line block ×6, first 2 shown]


/* closeLoop loopL finalLoop=1 tailLoop=1 */
s_sub_i32 s[sgprLoopCounterL], s[sgprLoopCounterL], 0x8 // dec counterL (tailLoop)
s_add_u32 s[sgprOrigLoopCounter], s[sgprOrigLoopCounter], 0x8 // inc counterL
s_cmp_le_i32 s[sgprLoopCounterL], 0x0              // counterL<=0
s_cbranch_scc0 TailLoopBeginL_6                    // restart LoopL
TailLoopEndL_7:

SkipTailLoopL_8:

Summation_End_18:
/* endSummation: add vgpr [0...72) to pool */
.set NumFullBlocks, UNDEF
.set WgmRemainder1, UNDEF
.set MagicNumberWgmRemainder1, UNDEF

/* Mapping of Acc register -> C Vgpr register */


/* shift vector components d0 */

v_mov_b32 v1, s[sgprWorkGroup0]                    // 
v_mul_i32_i24 v1, -0x80, v1                        // wg*MT
_v_add_co_u32 v1, vcc, s[sgprSizesFree+0], v1      // wgMT = Size - wg*MT
v_mov_b32 v2, 0x80                                 // MT
v_min_u32 v1, v2, v1                               // wgMT = (wgMT < MT) ? wgMT : MT
v_lshrrev_b32 v0, 6, v[vgprSerial]                 // v0 = v[vgprSerial] / 64
v_and_b32 v3, 1, v0                                // v3 = v0 % 2
v_lshrrev_b32 v0, 5, v1                            // v0 = v1 / 32
v_and_b32 v4, 1, v0                                // v4 = v0 % 2
v_cmp_eq_u32 s[10:11], v4, v3                      // wave_id == block_belong_to_wave?
v_cndmask_b32 v1, v2, v1, s[10:11]                 // wgMT = (wgMT < MT) ? wgMT : MT

/* mbReg: which mb block need to shift, mb(matrixInstCoal(32) * VectorWidth(1)) */
v_lshrrev_b32 v2, 5, v1                            // v2 = v1 / 32
v_lshlrev_b32 v4, 0x0, v3                          // v4 = v3 * 1
_v_sub_u32 v2, v2, v4                              // 

/* gbReg: glvw block id */
v_lshrrev_b32 v4, 2, v1                            // v4 = v1 / 4

/* tgbReg: glvw block id */
v_lshrrev_b32 v0, 0, v[vgprSerial]                 // v0 = v[vgprSerial] / 1
v_and_b32 v5, 31, v0                               // v5 = v0 % 32
                                                   // v5 = v5 * 1 (multiplier is 1, do nothing)
v_lshrrev_b32 v5, 2, v5                            // v5 = v5 / 4
v_lshlrev_b32 v3, 0x3, v3                          // v3 = v3 * 8
_v_add_co_u32 v5, vcc, v3, v5                      // tgbReg = (tid_coal * continOut) / GLVW
_v_sub_u32 v4, v4, v5                              // 

/* vwReg: glvw in which vw block? */
v_and_b32 v3, 0, v1                                // permute register between threads
v_lshrrev_b32 v3, 2, v3                            // permute register between threads

/* rReg : reminder of M_size % GlobalLoadVectorWidth */
v_and_b32 v5, 3, v1                                // v5 = v1 % 4
v_cmp_eq_u32 vcc, v5, 0x1                          // wgMT%VW == 1
s_cbranch_vccnz label_0019                         // branch to shift d0 r=1
v_cmp_eq_u32 vcc, v5, 0x2                          // wgMT%VW == 2
s_cbranch_vccnz label_0024                         // branch to shift d0 r=2
v_cmp_eq_u32 vcc, v5, 0x3                          // wgMT%VW == 3
s_cbranch_vccnz label_0029                         // branch to shift d0 r=3
s_branch label_0034                                // no shifting

/******************************************/
/* shift d0 r=1                           */
/******************************************/
label_0019:
v_cmp_eq_u32 vcc, v2, 0x0                          // 
s_cbranch_vccnz label_0020                         // branch to shift d0 r1 mb0
v_cmp_eq_u32 vcc, v2, 0x2                          // 
s_cbranch_vccnz label_0022                         // branch to shift d0 r1 mb1

/******************************************/
/* shift d0 r=2                           */
/******************************************/
label_0024:
v_cmp_eq_u32 vcc, v2, 0x0                          // 
s_cbranch_vccnz label_0025                         // branch to shift d0 r2 mb0
v_cmp_eq_u32 vcc, v2, 0x2                          // 
s_cbranch_vccnz label_0027                         // branch to shift d0 r2 mb1

/******************************************/
/* shift d0 r=3                           */
/******************************************/
label_0029:
v_cmp_eq_u32 vcc, v2, 0x0                          // 
s_cbranch_vccnz label_0030                         // branch to shift d0 r3 mb0
v_cmp_eq_u32 vcc, v2, 0x2                          // 
s_cbranch_vccnz label_0032                         // branch to shift d0 r3 mb1

/******************************************/
/* shift d0 r=1 mb=0                      */
/******************************************/
label_0020: // r1 mb0 
v_cmp_eq_u32 vcc, v3, 0x0                          // 
s_cbranch_vccnz label_0021                         // branch to shift d0 r1 mb0 vw0

/******************************************/
/* shift d0 r=1 mb=1                      */
/******************************************/
label_0022: // r1 mb1 
v_cmp_eq_u32 vcc, v3, 0x0                          // 
s_cbranch_vccnz label_0023                         // branch to shift d0 r1 mb1 vw0

/******************************************/
/* shift d0 r=2 mb=0                      */
/******************************************/
label_0025: // r2 mb0 
v_cmp_eq_u32 vcc, v3, 0x0                          // 
s_cbranch_vccnz label_0026                         // branch to shift d0 r2 mb0 vw0

/******************************************/
/* shift d0 r=2 mb=1                      */
/******************************************/
label_0027: // r2 mb1 
v_cmp_eq_u32 vcc, v3, 0x0                          // 
s_cbranch_vccnz label_0028                         // branch to shift d0 r2 mb1 vw0

/******************************************/
/* shift d0 r=3 mb=0                      */
/******************************************/
label_0030: // r3 mb0 
v_cmp_eq_u32 vcc, v3, 0x0                          // 
s_cbranch_vccnz label_0031                         // branch to shift d0 r3 mb0 vw0

/******************************************/
/* shift d0 r=3 mb=1                      */
/******************************************/
label_0032: // r3 mb1 
v_cmp_eq_u32 vcc, v3, 0x0                          // 
s_cbranch_vccnz label_0033                         // branch to shift d0 r3 mb1 vw0

/******************************************/
/* shift d0 r=1 mb=0 vw0                  */
/******************************************/
label_0021: // r1 mb0 vw0 
s_mov_b32 s10, 0                                   // 
_v_cmpx_eq_u32 s[10:11], v4, s10                   // is thread in edge glvw region
v_and_b32 v0, 63, v[vgprSerial]                    // permute register between threads
v_lshlrev_b32 v0, 2, v0                            // permute register between threads
v_accvgpr_read_b32 v5, acc0                        // glvw 1 mb 0 tt1 0 r 0
s_nop 1                                            // v_accvgpr read vgpr after write vgpr: 2 wait states
ds_bpermute_b32 v5, v0, v5, offset:12              // permute edge values
s_waitcnt 0                                        // wait for swizzle operation
v_accvgpr_write_b32 acc0, v5                       // 
v_accvgpr_read_b32 v5, acc1                        // glvw 1 mb 0 tt1 1 r 0
s_nop 1                                            // v_accvgpr read vgpr after write vgpr: 2 wait states
ds_bpermute_b32 v5, v0, v5, offset:12              // permute edge values
s_waitcnt 0                                        // wait for swizzle operation
v_accvgpr_write_b32 acc1, v5                       // 
v_accvgpr_read_b32 v5, acc2                        // glvw 1 mb 0 tt1 2 r 0
s_nop 1                                            // v_accvgpr read vgpr after write vgpr: 2 wait states
ds_bpermute_b32 v5, v0, v5, offset:12              // permute edge values
s_waitcnt 0                                        // wait for swizzle operation
v_accvgpr_write_b32 acc2, v5                       // 
v_accvgpr_read_b32 v5, acc3                        // glvw 1 mb 0 tt1 3 r 0
s_nop 1                                            // v_accvgpr read vgpr after write vgpr: 2 wait states
ds_bpermute_b32 v5, v0, v5, offset:12              // permute edge values
s_waitcnt 0                                        // wait for swizzle operation
v_accvgpr_write_b32 acc3, v5                       // 
v_accvgpr_read_b32 v5, acc4                        // glvw 1 mb 0 tt1 4 r 0
s_nop 1                                            // v_accvgpr read vgpr after write vgpr: 2 wait states
ds_bpermute_b32 v5, v0, v5, offset:12              // permute edge values
s_waitcnt 0                                        // wait for swizzle operation
v_accvgpr_write_b32 acc4, v5                       // 
v_accvgpr_read_b32 v5, acc5                        // glvw 1 mb 0 tt1 5 r 0
s_nop 1                                            // v_accvgpr read vgpr after write vgpr: 2 wait states
ds_bpermute_b32 v5, v0, v5, offset:12              // permute edge values
s_waitcnt 0                                        // wait for swizzle operation
v_accvgpr_write_b32 acc5, v5                       // 
v_accvgpr_read_b32 v5, acc6                        // glvw 1 mb 0 tt1 6 r 0
s_nop 1                                            // v_accvgpr read vgpr after write vgpr: 2 wait states
ds_bpermute_b32 v5, v0, v5, offset:12              // permute edge values
s_waitcnt 0                                        // wait for swizzle operation
v_accvgpr_write_b32 acc6, v5                       // 
v_accvgpr_read_b32 v5, acc7                        // glvw 1 mb 0 tt1 7 r 0
s_nop 1                                            // v_accvgpr read vgpr after write vgpr: 2 wait states
ds_bpermute_b32 v5, v0, v5, offset:12              // permute edge values
s_waitcnt 0                                        // wait for swizzle operation
v_accvgpr_write_b32 acc7, v5                       // 
v_accvgpr_read_b32 v5, acc8                        // glvw 1 mb 0 tt1 8 r 0
s_nop 1                                            // v_accvgpr read vgpr after write vgpr: 2 wait states
ds_bpermute_b32 v5, v0, v5, offset:12              // permute edge values
s_waitcnt 0                                        // wait for swizzle operation
v_accvgpr_write_b32 acc8, v5                       // 
v_accvgpr_read_b32 v5, acc9                        // glvw 1 mb 0 tt1 9 r 0
s_nop 1                                            // v_accvgpr read vgpr after write vgpr: 2 wait states
ds_bpermute_b32 v5, v0, v5, offset:12              // permute edge values
s_waitcnt 0                                        // wait for swizzle operation
v_accvgpr_write_b32 acc9, v5                       // 
v_accvgpr_read_b32 v5, acc10                       // glvw 1 mb 0 tt1 10 r 0
s_nop 1                                            // v_accvgpr read vgpr after write vgpr: 2 wait states
ds_bpermute_b32 v5, v0, v5, offset:12              // permute edge values
s_waitcnt 0                                        // wait for swizzle operation
v_accvgpr_write_b32 acc10, v5                      // 
v_accvgpr_read_b32 v5, acc11                       // glvw 1 mb 0 tt1 11 r 0
s_nop 1                                            // v_accvgpr read vgpr after write vgpr: 2 wait states
ds_bpermute_b32 v5, v0, v5, offset:12              // permute edge values
s_waitcnt 0                                        // wait for swizzle operation
v_accvgpr_write_b32 acc11, v5                      // 
v_accvgpr_read_b32 v5, acc12                       // glvw 1 mb 0 tt1 12 r 0
s_nop 1                                            // v_accvgpr read vgpr after write vgpr: 2 wait states
ds_bpermute_b32 v5, v0, v5, offset:12              // permute edge values
s_waitcnt 0                                        // wait for swizzle operation
v_accvgpr_write_b32 acc12, v5                      // 
v_accvgpr_read_b32 v5, acc13                       // glvw 1 mb 0 tt1 13 r 0
s_nop 1                                            // v_accvgpr read vgpr after write vgpr: 2 wait states
ds_bpermute_b32 v5, v0, v5, offset:12              // permute edge values
s_waitcnt 0                                        // wait for swizzle operation
v_accvgpr_write_b32 acc13, v5                      // 
v_accvgpr_read_b32 v5, acc14                       // glvw 1 mb 0 tt1 14 r 0
s_nop 1                                            // v_accvgpr read vgpr after write vgpr: 2 wait states
ds_bpermute_b32 v5, v0, v5, offset:12              // permute edge values
s_waitcnt 0                                        // wait for swizzle operation
v_accvgpr_write_b32 acc14, v5                      // 
v_accvgpr_read_b32 v5, acc15                       // glvw 1 mb 0 tt1 15 r 0
s_nop 1                                            // v_accvgpr read vgpr after write vgpr: 2 wait states
ds_bpermute_b32 v5, v0, v5, offset:12              // permute edge values
s_waitcnt 0                                        // wait for swizzle operation
v_accvgpr_write_b32 acc15, v5                      // 
v_accvgpr_read_b32 v5, acc32                       // glvw 1 mb 0 tt1 16 r 0
s_nop 1                                            // v_accvgpr read vgpr after write vgpr: 2 wait states
ds_bpermute_b32 v5, v0, v5, offset:12              // permute edge values
s_waitcnt 0                                        // wait for swizzle operation
v_accvgpr_write_b32 acc32, v5                      // 
v_accvgpr_read_b32 v5, acc33                       // glvw 1 mb 0 tt1 17 r 0
s_nop 1                                            // v_accvgpr read vgpr after write vgpr: 2 wait states
ds_bpermute_b32 v5, v0, v5, offset:12              // permute edge values
s_waitcnt 0                                        // wait for swizzle operation
v_accvgpr_write_b32 acc33, v5                      // 
v_accvgpr_read_b32 v5, acc34                       // glvw 1 mb 0 tt1 18 r 0
s_nop 1                                            // v_accvgpr read vgpr after write vgpr: 2 wait states
ds_bpermute_b32 v5, v0, v5, offset:12              // permute edge values
s_waitcnt 0                                        // wait for swizzle operation
v_accvgpr_write_b32 acc34, v5                      // 
v_accvgpr_read_b32 v5, acc35                       // glvw 1 mb 0 tt1 19 r 0
s_nop 1                                            // v_accvgpr read vgpr after write vgpr: 2 wait states
ds_bpermute_b32 v5, v0, v5, offset:12              // permute edge values
s_waitcnt 0                                        // wait for swizzle operation
v_accvgpr_write_b32 acc35, v5                      // 
v_accvgpr_read_b32 v5, acc36                       // glvw 1 mb 0 tt1 20 r 0
s_nop 1                                            // v_accvgpr read vgpr after write vgpr: 2 wait states
ds_bpermute_b32 v5, v0, v5, offset:12              // permute edge values
s_waitcnt 0                                        // wait for swizzle operation
v_accvgpr_write_b32 acc36, v5                      // 
v_accvgpr_read_b32 v5, acc37                       // glvw 1 mb 0 tt1 21 r 0
s_nop 1                                            // v_accvgpr read vgpr after write vgpr: 2 wait states
ds_bpermute_b32 v5, v0, v5, offset:12              // permute edge values
s_waitcnt 0                                        // wait for swizzle operation
v_accvgpr_write_b32 acc37, v5                      // 
v_accvgpr_read_b32 v5, acc38                       // glvw 1 mb 0 tt1 22 r 0
s_nop 1                                            // v_accvgpr read vgpr after write vgpr: 2 wait states
ds_bpermute_b32 v5, v0, v5, offset:12              // permute edge values
s_waitcnt 0                                        // wait for swizzle operation
v_accvgpr_write_b32 acc38, v5                      // 
v_accvgpr_read_b32 v5, acc39                       // glvw 1 mb 0 tt1 23 r 0
s_nop 1                                            // v_accvgpr read vgpr after write vgpr: 2 wait states
ds_bpermute_b32 v5, v0, v5, offset:12              // permute edge values
s_waitcnt 0                                        // wait for swizzle operation
v_accvgpr_write_b32 acc39, v5                      // 
v_accvgpr_read_b32 v5, acc40                       // glvw 1 mb 0 tt1 24 r 0
s_nop 1                                            // v_accvgpr read vgpr after write vgpr: 2 wait states
ds_bpermute_b32 v5, v0, v5, offset:12              // permute edge values
s_waitcnt 0                                        // wait for swizzle operation
v_accvgpr_write_b32 acc40, v5                      // 
v_accvgpr_read_b32 v5, acc41                       // glvw 1 mb 0 tt1 25 r 0
s_nop 1                                            // v_accvgpr read vgpr after write vgpr: 2 wait states
ds_bpermute_b32 v5, v0, v5, offset:12              // permute edge values
s_waitcnt 0                                        // wait for swizzle operation
v_accvgpr_write_b32 acc41, v5                      // 
v_accvgpr_read_b32 v5, acc42                       // glvw 1 mb 0 tt1 26 r 0
s_nop 1                                            // v_accvgpr read vgpr after write vgpr: 2 wait states
ds_bpermute_b32 v5, v0, v5, offset:12              // permute edge values
s_waitcnt 0                                        // wait for swizzle operation
v_accvgpr_write_b32 acc42, v5                      // 
v_accvgpr_read_b32 v5, acc43                       // glvw 1 mb 0 tt1 27 r 0
s_nop 1                                            // v_accvgpr read vgpr after write vgpr: 2 wait states
ds_bpermute_b32 v5, v0, v5, offset:12              // permute edge values
s_waitcnt 0                                        // wait for swizzle operation
v_accvgpr_write_b32 acc43, v5                      // 
v_accvgpr_read_b32 v5, acc44                       // glvw 1 mb 0 tt1 28 r 0
s_nop 1                                            // v_accvgpr read vgpr after write vgpr: 2 wait states
ds_bpermute_b32 v5, v0, v5, offset:12              // permute edge values
s_waitcnt 0                                        // wait for swizzle operation
v_accvgpr_write_b32 acc44, v5                      // 
v_accvgpr_read_b32 v5, acc45                       // glvw 1 mb 0 tt1 29 r 0
s_nop 1                                            // v_accvgpr read vgpr after write vgpr: 2 wait states
ds_bpermute_b32 v5, v0, v5, offset:12              // permute edge values
s_waitcnt 0                                        // wait for swizzle operation
v_accvgpr_write_b32 acc45, v5                      // 
v_accvgpr_read_b32 v5, acc46                       // glvw 1 mb 0 tt1 30 r 0
s_nop 1                                            // v_accvgpr read vgpr after write vgpr: 2 wait states
ds_bpermute_b32 v5, v0, v5, offset:12              // permute edge values
s_waitcnt 0                                        // wait for swizzle operation
v_accvgpr_write_b32 acc46, v5                      // 
v_accvgpr_read_b32 v5, acc47                       // glvw 1 mb 0 tt1 31 r 0
s_nop 1                                            // v_accvgpr read vgpr after write vgpr: 2 wait states
ds_bpermute_b32 v5, v0, v5, offset:12              // permute edge values
s_waitcnt 0                                        // wait for swizzle operation
v_accvgpr_write_b32 acc47, v5                      // 
v_accvgpr_read_b32 v5, acc64                       // glvw 1 mb 0 tt1 32 r 0
s_nop 1                                            // v_accvgpr read vgpr after write vgpr: 2 wait states
ds_bpermute_b32 v5, v0, v5, offset:12              // permute edge values
s_waitcnt 0                                        // wait for swizzle operation
v_accvgpr_write_b32 acc64, v5                      // 
v_accvgpr_read_b32 v5, acc65                       // glvw 1 mb 0 tt1 33 r 0
s_nop 1                                            // v_accvgpr read vgpr after write vgpr: 2 wait states
ds_bpermute_b32 v5, v0, v5, offset:12              // permute edge values
s_waitcnt 0                                        // wait for swizzle operation
v_accvgpr_write_b32 acc65, v5                      // 
v_accvgpr_read_b32 v5, acc66                       // glvw 1 mb 0 tt1 34 r 0
s_nop 1                                            // v_accvgpr read vgpr after write vgpr: 2 wait states
ds_bpermute_b32 v5, v0, v5, offset:12              // permute edge values
s_waitcnt 0                                        // wait for swizzle operation
v_accvgpr_write_b32 acc66, v5                      // 
v_accvgpr_read_b32 v5, acc67                       // glvw 1 mb 0 tt1 35 r 0
s_nop 1                                            // v_accvgpr read vgpr after write vgpr: 2 wait states
ds_bpermute_b32 v5, v0, v5, offset:12              // permute edge values
s_waitcnt 0                                        // wait for swizzle operation
v_accvgpr_write_b32 acc67, v5                      // 
v_accvgpr_read_b32 v5, acc68                       // glvw 1 mb 0 tt1 36 r 0
s_nop 1                                            // v_accvgpr read vgpr after write vgpr: 2 wait states
ds_bpermute_b32 v5, v0, v5, offset:12              // permute edge values
s_waitcnt 0                                        // wait for swizzle operation
v_accvgpr_write_b32 acc68, v5                      // 
v_accvgpr_read_b32 v5, acc69                       // glvw 1 mb 0 tt1 37 r 0
s_nop 1                                            // v_accvgpr read vgpr after write vgpr: 2 wait states
ds_bpermute_b32 v5, v0, v5, offset:12              // permute edge values
s_waitcnt 0                                        // wait for swizzle operation
v_accvgpr_write_b32 acc69, v5                      // 
v_accvgpr_read_b32 v5, acc70                       // glvw 1 mb 0 tt1 38 r 0
s_nop 1                                            // v_accvgpr read vgpr after write vgpr: 2 wait states
ds_bpermute_b32 v5, v0, v5, offset:12              // permute edge values
s_waitcnt 0                                        // wait for swizzle operation
v_accvgpr_write_b32 acc70, v5                      // 
v_accvgpr_read_b32 v5, acc71                       // glvw 1 mb 0 tt1 39 r 0
s_nop 1                                            // v_accvgpr read vgpr after write vgpr: 2 wait states
ds_bpermute_b32 v5, v0, v5, offset:12              // permute edge values
s_waitcnt 0                                        // wait for swizzle operation
v_accvgpr_write_b32 acc71, v5                      // 
v_accvgpr_read_b32 v5, acc72                       // glvw 1 mb 0 tt1 40 r 0
s_nop 1                                            // v_accvgpr read vgpr after write vgpr: 2 wait states
ds_bpermute_b32 v5, v0, v5, offset:12              // permute edge values
s_waitcnt 0                                        // wait for swizzle operation
v_accvgpr_write_b32 acc72, v5                      // 
v_accvgpr_read_b32 v5, acc73                       // glvw 1 mb 0 tt1 41 r 0
s_nop 1                                            // v_accvgpr read vgpr after write vgpr: 2 wait states
ds_bpermute_b32 v5, v0, v5, offset:12              // permute edge values
s_waitcnt 0                                        // wait for swizzle operation
v_accvgpr_write_b32 acc73, v5                      // 
v_accvgpr_read_b32 v5, acc74                       // glvw 1 mb 0 tt1 42 r 0
s_nop 1                                            // v_accvgpr read vgpr after write vgpr: 2 wait states
ds_bpermute_b32 v5, v0, v5, offset:12              // permute edge values
s_waitcnt 0                                        // wait for swizzle operation
v_accvgpr_write_b32 acc74, v5                      // 
v_accvgpr_read_b32 v5, acc75                       // glvw 1 mb 0 tt1 43 r 0
s_nop 1                                            // v_accvgpr read vgpr after write vgpr: 2 wait states
ds_bpermute_b32 v5, v0, v5, offset:12              // permute edge values
s_waitcnt 0                                        // wait for swizzle operation
v_accvgpr_write_b32 acc75, v5                      // 
v_accvgpr_read_b32 v5, acc76                       // glvw 1 mb 0 tt1 44 r 0
s_nop 1                                            // v_accvgpr read vgpr after write vgpr: 2 wait states
ds_bpermute_b32 v5, v0, v5, offset:12              // permute edge values
s_waitcnt 0                                        // wait for swizzle operation
v_accvgpr_write_b32 acc76, v5                      // 
v_accvgpr_read_b32 v5, acc77                       // glvw 1 mb 0 tt1 45 r 0
s_nop 1                                            // v_accvgpr read vgpr after write vgpr: 2 wait states
ds_bpermute_b32 v5, v0, v5, offset:12              // permute edge values
s_waitcnt 0                                        // wait for swizzle operation
v_accvgpr_write_b32 acc77, v5                      // 
v_accvgpr_read_b32 v5, acc78                       // glvw 1 mb 0 tt1 46 r 0
s_nop 1                                            // v_accvgpr read vgpr after write vgpr: 2 wait states
ds_bpermute_b32 v5, v0, v5, offset:12              // permute edge values
s_waitcnt 0                                        // wait for swizzle operation
v_accvgpr_write_b32 acc78, v5                      // 
v_accvgpr_read_b32 v5, acc79                       // glvw 1 mb 0 tt1 47 r 0
s_nop 1                                            // v_accvgpr read vgpr after write vgpr: 2 wait states
ds_bpermute_b32 v5, v0, v5, offset:12              // permute edge values
s_waitcnt 0                                        // wait for swizzle operation
v_accvgpr_write_b32 acc79, v5                      // 
s_mov_b64 s[10:11], 0xFFFFFFFFFFFFFFFF             // to restore all threads active
s_or_saveexec_b64 vcc, s[10:11]                    // all threads active
s_branch label_0034                                // done shifting


/******************************************/
/* shift d0 r=1 mb=1 vw0                  */
/******************************************/
label_0023: // r1 mb1 vw0 
s_mov_b32 s10, 16                                  // 
_v_cmpx_eq_u32 s[10:11], v4, s10                   // is thread in edge glvw region
v_and_b32 v0, 63, v[vgprSerial]                    // permute register between threads
v_lshlrev_b32 v0, 2, v0                            // permute register between threads
v_accvgpr_read_b32 v5, acc16                       // glvw 1 mb 1 tt1 0 r 0
s_nop 1                                            // v_accvgpr read vgpr after write vgpr: 2 wait states
ds_bpermute_b32 v5, v0, v5, offset:12              // permute edge values
s_waitcnt 0                                        // wait for swizzle operation
v_accvgpr_write_b32 acc16, v5                      // 
v_accvgpr_read_b32 v5, acc17                       // glvw 1 mb 1 tt1 1 r 0
s_nop 1                                            // v_accvgpr read vgpr after write vgpr: 2 wait states
ds_bpermute_b32 v5, v0, v5, offset:12              // permute edge values
s_waitcnt 0                                        // wait for swizzle operation
v_accvgpr_write_b32 acc17, v5                      // 
v_accvgpr_read_b32 v5, acc18                       // glvw 1 mb 1 tt1 2 r 0
s_nop 1                                            // v_accvgpr read vgpr after write vgpr: 2 wait states
ds_bpermute_b32 v5, v0, v5, offset:12              // permute edge values
s_waitcnt 0                                        // wait for swizzle operation
v_accvgpr_write_b32 acc18, v5                      // 
v_accvgpr_read_b32 v5, acc19                       // glvw 1 mb 1 tt1 3 r 0
s_nop 1                                            // v_accvgpr read vgpr after write vgpr: 2 wait states
ds_bpermute_b32 v5, v0, v5, offset:12              // permute edge values
s_waitcnt 0                                        // wait for swizzle operation
v_accvgpr_write_b32 acc19, v5                      // 
v_accvgpr_read_b32 v5, acc20                       // glvw 1 mb 1 tt1 4 r 0
s_nop 1                                            // v_accvgpr read vgpr after write vgpr: 2 wait states
ds_bpermute_b32 v5, v0, v5, offset:12              // permute edge values
s_waitcnt 0                                        // wait for swizzle operation
v_accvgpr_write_b32 acc20, v5                      // 
v_accvgpr_read_b32 v5, acc21                       // glvw 1 mb 1 tt1 5 r 0
s_nop 1                                            // v_accvgpr read vgpr after write vgpr: 2 wait states
ds_bpermute_b32 v5, v0, v5, offset:12              // permute edge values
s_waitcnt 0                                        // wait for swizzle operation
v_accvgpr_write_b32 acc21, v5                      // 
v_accvgpr_read_b32 v5, acc22                       // glvw 1 mb 1 tt1 6 r 0
s_nop 1                                            // v_accvgpr read vgpr after write vgpr: 2 wait states
ds_bpermute_b32 v5, v0, v5, offset:12              // permute edge values
s_waitcnt 0                                        // wait for swizzle operation
v_accvgpr_write_b32 acc22, v5                      // 
v_accvgpr_read_b32 v5, acc23                       // glvw 1 mb 1 tt1 7 r 0
s_nop 1                                            // v_accvgpr read vgpr after write vgpr: 2 wait states
ds_bpermute_b32 v5, v0, v5, offset:12              // permute edge values
s_waitcnt 0                                        // wait for swizzle operation
v_accvgpr_write_b32 acc23, v5                      // 
v_accvgpr_read_b32 v5, acc24                       // glvw 1 mb 1 tt1 8 r 0
s_nop 1                                            // v_accvgpr read vgpr after write vgpr: 2 wait states
ds_bpermute_b32 v5, v0, v5, offset:12              // permute edge values
s_waitcnt 0                                        // wait for swizzle operation
v_accvgpr_write_b32 acc24, v5                      // 
v_accvgpr_read_b32 v5, acc25                       // glvw 1 mb 1 tt1 9 r 0
s_nop 1                                            // v_accvgpr read vgpr after write vgpr: 2 wait states
ds_bpermute_b32 v5, v0, v5, offset:12              // permute edge values
s_waitcnt 0                                        // wait for swizzle operation
v_accvgpr_write_b32 acc25, v5                      // 
v_accvgpr_read_b32 v5, acc26                       // glvw 1 mb 1 tt1 10 r 0
s_nop 1                                            // v_accvgpr read vgpr after write vgpr: 2 wait states
ds_bpermute_b32 v5, v0, v5, offset:12              // permute edge values
s_waitcnt 0                                        // wait for swizzle operation
v_accvgpr_write_b32 acc26, v5                      // 
v_accvgpr_read_b32 v5, acc27                       // glvw 1 mb 1 tt1 11 r 0
s_nop 1                                            // v_accvgpr read vgpr after write vgpr: 2 wait states
ds_bpermute_b32 v5, v0, v5, offset:12              // permute edge values
s_waitcnt 0                                        // wait for swizzle operation
v_accvgpr_write_b32 acc27, v5                      // 
v_accvgpr_read_b32 v5, acc28                       // glvw 1 mb 1 tt1 12 r 0
s_nop 1                                            // v_accvgpr read vgpr after write vgpr: 2 wait states
ds_bpermute_b32 v5, v0, v5, offset:12              // permute edge values
s_waitcnt 0                                        // wait for swizzle operation
v_accvgpr_write_b32 acc28, v5                      // 
v_accvgpr_read_b32 v5, acc29                       // glvw 1 mb 1 tt1 13 r 0
s_nop 1                                            // v_accvgpr read vgpr after write vgpr: 2 wait states
ds_bpermute_b32 v5, v0, v5, offset:12              // permute edge values
s_waitcnt 0                                        // wait for swizzle operation
v_accvgpr_write_b32 acc29, v5                      // 
v_accvgpr_read_b32 v5, acc30                       // glvw 1 mb 1 tt1 14 r 0
s_nop 1                                            // v_accvgpr read vgpr after write vgpr: 2 wait states
ds_bpermute_b32 v5, v0, v5, offset:12              // permute edge values
s_waitcnt 0                                        // wait for swizzle operation
v_accvgpr_write_b32 acc30, v5                      // 
v_accvgpr_read_b32 v5, acc31                       // glvw 1 mb 1 tt1 15 r 0
s_nop 1                                            // v_accvgpr read vgpr after write vgpr: 2 wait states
ds_bpermute_b32 v5, v0, v5, offset:12              // permute edge values
s_waitcnt 0                                        // wait for swizzle operation
v_accvgpr_write_b32 acc31, v5                      // 
v_accvgpr_read_b32 v5, acc48                       // glvw 1 mb 1 tt1 16 r 0
s_nop 1                                            // v_accvgpr read vgpr after write vgpr: 2 wait states
ds_bpermute_b32 v5, v0, v5, offset:12              // permute edge values
s_waitcnt 0                                        // wait for swizzle operation
v_accvgpr_write_b32 acc48, v5                      // 
v_accvgpr_read_b32 v5, acc49                       // glvw 1 mb 1 tt1 17 r 0
s_nop 1                                            // v_accvgpr read vgpr after write vgpr: 2 wait states
ds_bpermute_b32 v5, v0, v5, offset:12              // permute edge values
s_waitcnt 0                                        // wait for swizzle operation
v_accvgpr_write_b32 acc49, v5                      // 
v_accvgpr_read_b32 v5, acc50                       // glvw 1 mb 1 tt1 18 r 0
s_nop 1                                            // v_accvgpr read vgpr after write vgpr: 2 wait states
ds_bpermute_b32 v5, v0, v5, offset:12              // permute edge values
s_waitcnt 0                                        // wait for swizzle operation
v_accvgpr_write_b32 acc50, v5                      // 
v_accvgpr_read_b32 v5, acc51                       // glvw 1 mb 1 tt1 19 r 0
s_nop 1                                            // v_accvgpr read vgpr after write vgpr: 2 wait states
ds_bpermute_b32 v5, v0, v5, offset:12              // permute edge values
s_waitcnt 0                                        // wait for swizzle operation
v_accvgpr_write_b32 acc51, v5                      // 
v_accvgpr_read_b32 v5, acc52                       // glvw 1 mb 1 tt1 20 r 0
s_nop 1                                            // v_accvgpr read vgpr after write vgpr: 2 wait states
ds_bpermute_b32 v5, v0, v5, offset:12              // permute edge values
s_waitcnt 0                                        // wait for swizzle operation
v_accvgpr_write_b32 acc52, v5                      // 
v_accvgpr_read_b32 v5, acc53                       // glvw 1 mb 1 tt1 21 r 0
s_nop 1                                            // v_accvgpr read vgpr after write vgpr: 2 wait states
ds_bpermute_b32 v5, v0, v5, offset:12              // permute edge values
s_waitcnt 0                                        // wait for swizzle operation
v_accvgpr_write_b32 acc53, v5                      // 
v_accvgpr_read_b32 v5, acc54                       // glvw 1 mb 1 tt1 22 r 0
s_nop 1                                            // v_accvgpr read vgpr after write vgpr: 2 wait states
ds_bpermute_b32 v5, v0, v5, offset:12              // permute edge values
s_waitcnt 0                                        // wait for swizzle operation
v_accvgpr_write_b32 acc54, v5                      // 
v_accvgpr_read_b32 v5, acc55                       // glvw 1 mb 1 tt1 23 r 0
s_nop 1                                            // v_accvgpr read vgpr after write vgpr: 2 wait states
ds_bpermute_b32 v5, v0, v5, offset:12              // permute edge values
s_waitcnt 0                                        // wait for swizzle operation
v_accvgpr_write_b32 acc55, v5                      // 
v_accvgpr_read_b32 v5, acc56                       // glvw 1 mb 1 tt1 24 r 0
s_nop 1                                            // v_accvgpr read vgpr after write vgpr: 2 wait states
ds_bpermute_b32 v5, v0, v5, offset:12              // permute edge values
s_waitcnt 0                                        // wait for swizzle operation
v_accvgpr_write_b32 acc56, v5                      // 
v_accvgpr_read_b32 v5, acc57                       // glvw 1 mb 1 tt1 25 r 0
s_nop 1                                            // v_accvgpr read vgpr after write vgpr: 2 wait states
ds_bpermute_b32 v5, v0, v5, offset:12              // permute edge values
s_waitcnt 0                                        // wait for swizzle operation
v_accvgpr_write_b32 acc57, v5                      // 
v_accvgpr_read_b32 v5, acc58                       // glvw 1 mb 1 tt1 26 r 0
s_nop 1                                            // v_accvgpr read vgpr after write vgpr: 2 wait states
ds_bpermute_b32 v5, v0, v5, offset:12              // permute edge values
s_waitcnt 0                                        // wait for swizzle operation
v_accvgpr_write_b32 acc58, v5                      // 
v_accvgpr_read_b32 v5, acc59                       // glvw 1 mb 1 tt1 27 r 0
s_nop 1                                            // v_accvgpr read vgpr after write vgpr: 2 wait states
ds_bpermute_b32 v5, v0, v5, offset:12              // permute edge values
s_waitcnt 0                                        // wait for swizzle operation
v_accvgpr_write_b32 acc59, v5                      // 
v_accvgpr_read_b32 v5, acc60                       // glvw 1 mb 1 tt1 28 r 0
s_nop 1                                            // v_accvgpr read vgpr after write vgpr: 2 wait states
ds_bpermute_b32 v5, v0, v5, offset:12              // permute edge values
s_waitcnt 0                                        // wait for swizzle operation
v_accvgpr_write_b32 acc60, v5                      // 
v_accvgpr_read_b32 v5, acc61                       // glvw 1 mb 1 tt1 29 r 0
s_nop 1                                            // v_accvgpr read vgpr after write vgpr: 2 wait states
ds_bpermute_b32 v5, v0, v5, offset:12              // permute edge values
s_waitcnt 0                                        // wait for swizzle operation
v_accvgpr_write_b32 acc61, v5                      // 
v_accvgpr_read_b32 v5, acc62                       // glvw 1 mb 1 tt1 30 r 0
s_nop 1                                            // v_accvgpr read vgpr after write vgpr: 2 wait states
ds_bpermute_b32 v5, v0, v5, offset:12              // permute edge values
s_waitcnt 0                                        // wait for swizzle operation
v_accvgpr_write_b32 acc62, v5                      // 
v_accvgpr_read_b32 v5, acc63                       // glvw 1 mb 1 tt1 31 r 0
s_nop 1                                            // v_accvgpr read vgpr after write vgpr: 2 wait states
ds_bpermute_b32 v5, v0, v5, offset:12              // permute edge values
s_waitcnt 0                                        // wait for swizzle operation
v_accvgpr_write_b32 acc63, v5                      // 
v_accvgpr_read_b32 v5, acc80                       // glvw 1 mb 1 tt1 32 r 0
s_nop 1                                            // v_accvgpr read vgpr after write vgpr: 2 wait states
ds_bpermute_b32 v5, v0, v5, offset:12              // permute edge values
s_waitcnt 0                                        // wait for swizzle operation
v_accvgpr_write_b32 acc80, v5                      // 
v_accvgpr_read_b32 v5, acc81                       // glvw 1 mb 1 tt1 33 r 0
s_nop 1                                            // v_accvgpr read vgpr after write vgpr: 2 wait states
ds_bpermute_b32 v5, v0, v5, offset:12              // permute edge values
s_waitcnt 0                                        // wait for swizzle operation
v_accvgpr_write_b32 acc81, v5                      // 
v_accvgpr_read_b32 v5, acc82                       // glvw 1 mb 1 tt1 34 r 0
s_nop 1                                            // v_accvgpr read vgpr after write vgpr: 2 wait states
ds_bpermute_b32 v5, v0, v5, offset:12              // permute edge values
s_waitcnt 0                                        // wait for swizzle operation
v_accvgpr_write_b32 acc82, v5                      // 
v_accvgpr_read_b32 v5, acc83                       // glvw 1 mb 1 tt1 35 r 0
s_nop 1                                            // v_accvgpr read vgpr after write vgpr: 2 wait states
ds_bpermute_b32 v5, v0, v5, offset:12              // permute edge values
s_waitcnt 0                                        // wait for swizzle operation
v_accvgpr_write_b32 acc83, v5                      // 
v_accvgpr_read_b32 v5, acc84                       // glvw 1 mb 1 tt1 36 r 0
s_nop 1                                            // v_accvgpr read vgpr after write vgpr: 2 wait states
ds_bpermute_b32 v5, v0, v5, offset:12              // permute edge values
s_waitcnt 0                                        // wait for swizzle operation
v_accvgpr_write_b32 acc84, v5                      // 
v_accvgpr_read_b32 v5, acc85                       // glvw 1 mb 1 tt1 37 r 0
s_nop 1                                            // v_accvgpr read vgpr after write vgpr: 2 wait states
ds_bpermute_b32 v5, v0, v5, offset:12              // permute edge values
s_waitcnt 0                                        // wait for swizzle operation
v_accvgpr_write_b32 acc85, v5                      // 
v_accvgpr_read_b32 v5, acc86                       // glvw 1 mb 1 tt1 38 r 0
s_nop 1                                            // v_accvgpr read vgpr after write vgpr: 2 wait states
ds_bpermute_b32 v5, v0, v5, offset:12              // permute edge values
s_waitcnt 0                                        // wait for swizzle operation
v_accvgpr_write_b32 acc86, v5                      // 
v_accvgpr_read_b32 v5, acc87                       // glvw 1 mb 1 tt1 39 r 0
s_nop 1                                            // v_accvgpr read vgpr after write vgpr: 2 wait states
ds_bpermute_b32 v5, v0, v5, offset:12              // permute edge values
s_waitcnt 0                                        // wait for swizzle operation
v_accvgpr_write_b32 acc87, v5                      // 
v_accvgpr_read_b32 v5, acc88                       // glvw 1 mb 1 tt1 40 r 0
s_nop 1                                            // v_accvgpr read vgpr after write vgpr: 2 wait states
ds_bpermute_b32 v5, v0, v5, offset:12              // permute edge values
s_waitcnt 0                                        // wait for swizzle operation
v_accvgpr_write_b32 acc88, v5                      // 
v_accvgpr_read_b32 v5, acc89                       // glvw 1 mb 1 tt1 41 r 0
s_nop 1                                            // v_accvgpr read vgpr after write vgpr: 2 wait states
ds_bpermute_b32 v5, v0, v5, offset:12              // permute edge values
s_waitcnt 0                                        // wait for swizzle operation
v_accvgpr_write_b32 acc89, v5                      // 
v_accvgpr_read_b32 v5, acc90                       // glvw 1 mb 1 tt1 42 r 0
s_nop 1                                            // v_accvgpr read vgpr after write vgpr: 2 wait states
ds_bpermute_b32 v5, v0, v5, offset:12              // permute edge values
s_waitcnt 0                                        // wait for swizzle operation
v_accvgpr_write_b32 acc90, v5                      // 
v_accvgpr_read_b32 v5, acc91                       // glvw 1 mb 1 tt1 43 r 0
s_nop 1                                            // v_accvgpr read vgpr after write vgpr: 2 wait states
ds_bpermute_b32 v5, v0, v5, offset:12              // permute edge values
s_waitcnt 0                                        // wait for swizzle operation
v_accvgpr_write_b32 acc91, v5                      // 
v_accvgpr_read_b32 v5, acc92                       // glvw 1 mb 1 tt1 44 r 0
s_nop 1                                            // v_accvgpr read vgpr after write vgpr: 2 wait states
ds_bpermute_b32 v5, v0, v5, offset:12              // permute edge values
s_waitcnt 0                                        // wait for swizzle operation
v_accvgpr_write_b32 acc92, v5                      // 
v_accvgpr_read_b32 v5, acc93                       // glvw 1 mb 1 tt1 45 r 0
s_nop 1                                            // v_accvgpr read vgpr after write vgpr: 2 wait states
ds_bpermute_b32 v5, v0, v5, offset:12              // permute edge values
s_waitcnt 0                                        // wait for swizzle operation
v_accvgpr_write_b32 acc93, v5                      // 
v_accvgpr_read_b32 v5, acc94                       // glvw 1 mb 1 tt1 46 r 0
s_nop 1                                            // v_accvgpr read vgpr after write vgpr: 2 wait states
ds_bpermute_b32 v5, v0, v5, offset:12              // permute edge values
s_waitcnt 0                                        // wait for swizzle operation
v_accvgpr_write_b32 acc94, v5                      // 
v_accvgpr_read_b32 v5, acc95                       // glvw 1 mb 1 tt1 47 r 0
s_nop 1                                            // v_accvgpr read vgpr after write vgpr: 2 wait states
ds_bpermute_b32 v5, v0, v5, offset:12              // permute edge values
s_waitcnt 0                                        // wait for swizzle operation
v_accvgpr_write_b32 acc95, v5                      // 
s_mov_b64 s[10:11], 0xFFFFFFFFFFFFFFFF             // to restore all threads active
s_or_saveexec_b64 vcc, s[10:11]                    // all threads active
s_branch label_0034                                // done shifting


/******************************************/
/* shift d0 r=2 mb=0 vw0                  */
/******************************************/
label_0026: // r2 mb0 vw0 
s_mov_b32 s10, 0                                   // 
_v_cmpx_eq_u32 s[10:11], v4, s10                   // is thread in edge glvw region
v_and_b32 v0, 63, v[vgprSerial]                    // permute register between threads
v_lshlrev_b32 v0, 2, v0                            // permute register between threads
v_accvgpr_read_b32 v5, acc0                        // glvw 2 mb 0 tt1 0 r 0
s_nop 1                                            // v_accvgpr read vgpr after write vgpr: 2 wait states
ds_bpermute_b32 v5, v0, v5, offset:8               // permute edge values
s_waitcnt 0                                        // wait for swizzle operation
v_accvgpr_write_b32 acc0, v5                       // 
v_accvgpr_read_b32 v5, acc1                        // glvw 2 mb 0 tt1 1 r 0
s_nop 1                                            // v_accvgpr read vgpr after write vgpr: 2 wait states
ds_bpermute_b32 v5, v0, v5, offset:8               // permute edge values
s_waitcnt 0                                        // wait for swizzle operation
v_accvgpr_write_b32 acc1, v5                       // 
v_accvgpr_read_b32 v5, acc2                        // glvw 2 mb 0 tt1 2 r 0
s_nop 1                                            // v_accvgpr read vgpr after write vgpr: 2 wait states
ds_bpermute_b32 v5, v0, v5, offset:8               // permute edge values
s_waitcnt 0                                        // wait for swizzle operation
v_accvgpr_write_b32 acc2, v5                       // 
v_accvgpr_read_b32 v5, acc3                        // glvw 2 mb 0 tt1 3 r 0
s_nop 1                                            // v_accvgpr read vgpr after write vgpr: 2 wait states
ds_bpermute_b32 v5, v0, v5, offset:8               // permute edge values
s_waitcnt 0                                        // wait for swizzle operation
v_accvgpr_write_b32 acc3, v5                       // 
v_accvgpr_read_b32 v5, acc4                        // glvw 2 mb 0 tt1 4 r 0
s_nop 1                                            // v_accvgpr read vgpr after write vgpr: 2 wait states
ds_bpermute_b32 v5, v0, v5, offset:8               // permute edge values
s_waitcnt 0                                        // wait for swizzle operation
v_accvgpr_write_b32 acc4, v5                       // 
v_accvgpr_read_b32 v5, acc5                        // glvw 2 mb 0 tt1 5 r 0
s_nop 1                                            // v_accvgpr read vgpr after write vgpr: 2 wait states
ds_bpermute_b32 v5, v0, v5, offset:8               // permute edge values
s_waitcnt 0                                        // wait for swizzle operation
v_accvgpr_write_b32 acc5, v5                       // 
v_accvgpr_read_b32 v5, acc6                        // glvw 2 mb 0 tt1 6 r 0
s_nop 1                                            // v_accvgpr read vgpr after write vgpr: 2 wait states
ds_bpermute_b32 v5, v0, v5, offset:8               // permute edge values
s_waitcnt 0                                        // wait for swizzle operation
v_accvgpr_write_b32 acc6, v5                       // 
v_accvgpr_read_b32 v5, acc7                        // glvw 2 mb 0 tt1 7 r 0
s_nop 1                                            // v_accvgpr read vgpr after write vgpr: 2 wait states
ds_bpermute_b32 v5, v0, v5, offset:8               // permute edge values
s_waitcnt 0                                        // wait for swizzle operation
v_accvgpr_write_b32 acc7, v5                       // 
v_accvgpr_read_b32 v5, acc8                        // glvw 2 mb 0 tt1 8 r 0
s_nop 1                                            // v_accvgpr read vgpr after write vgpr: 2 wait states
ds_bpermute_b32 v5, v0, v5, offset:8               // permute edge values
s_waitcnt 0                                        // wait for swizzle operation
v_accvgpr_write_b32 acc8, v5                       // 
v_accvgpr_read_b32 v5, acc9                        // glvw 2 mb 0 tt1 9 r 0
s_nop 1                                            // v_accvgpr read vgpr after write vgpr: 2 wait states
ds_bpermute_b32 v5, v0, v5, offset:8               // permute edge values
s_waitcnt 0                                        // wait for swizzle operation
v_accvgpr_write_b32 acc9, v5                       // 
v_accvgpr_read_b32 v5, acc10                       // glvw 2 mb 0 tt1 10 r 0
s_nop 1                                            // v_accvgpr read vgpr after write vgpr: 2 wait states
ds_bpermute_b32 v5, v0, v5, offset:8               // permute edge values
s_waitcnt 0                                        // wait for swizzle operation
v_accvgpr_write_b32 acc10, v5                      // 
v_accvgpr_read_b32 v5, acc11                       // glvw 2 mb 0 tt1 11 r 0
s_nop 1                                            // v_accvgpr read vgpr after write vgpr: 2 wait states
ds_bpermute_b32 v5, v0, v5, offset:8               // permute edge values
s_waitcnt 0                                        // wait for swizzle operation
v_accvgpr_write_b32 acc11, v5                      // 
v_accvgpr_read_b32 v5, acc12                       // glvw 2 mb 0 tt1 12 r 0
s_nop 1                                            // v_accvgpr read vgpr after write vgpr: 2 wait states
ds_bpermute_b32 v5, v0, v5, offset:8               // permute edge values
s_waitcnt 0                                        // wait for swizzle operation
v_accvgpr_write_b32 acc12, v5                      // 
v_accvgpr_read_b32 v5, acc13                       // glvw 2 mb 0 tt1 13 r 0
s_nop 1                                            // v_accvgpr read vgpr after write vgpr: 2 wait states
ds_bpermute_b32 v5, v0, v5, offset:8               // permute edge values
s_waitcnt 0                                        // wait for swizzle operation
v_accvgpr_write_b32 acc13, v5                      // 
v_accvgpr_read_b32 v5, acc14                       // glvw 2 mb 0 tt1 14 r 0
s_nop 1                                            // v_accvgpr read vgpr after write vgpr: 2 wait states
ds_bpermute_b32 v5, v0, v5, offset:8               // permute edge values
s_waitcnt 0                                        // wait for swizzle operation
v_accvgpr_write_b32 acc14, v5                      // 
v_accvgpr_read_b32 v5, acc15                       // glvw 2 mb 0 tt1 15 r 0
s_nop 1                                            // v_accvgpr read vgpr after write vgpr: 2 wait states
ds_bpermute_b32 v5, v0, v5, offset:8               // permute edge values
s_waitcnt 0                                        // wait for swizzle operation
v_accvgpr_write_b32 acc15, v5                      // 
v_accvgpr_read_b32 v5, acc32                       // glvw 2 mb 0 tt1 16 r 0
s_nop 1                                            // v_accvgpr read vgpr after write vgpr: 2 wait states
ds_bpermute_b32 v5, v0, v5, offset:8               // permute edge values
s_waitcnt 0                                        // wait for swizzle operation
v_accvgpr_write_b32 acc32, v5                      // 
v_accvgpr_read_b32 v5, acc33                       // glvw 2 mb 0 tt1 17 r 0
s_nop 1                                            // v_accvgpr read vgpr after write vgpr: 2 wait states
ds_bpermute_b32 v5, v0, v5, offset:8               // permute edge values
s_waitcnt 0                                        // wait for swizzle operation
v_accvgpr_write_b32 acc33, v5                      // 
v_accvgpr_read_b32 v5, acc34                       // glvw 2 mb 0 tt1 18 r 0
s_nop 1                                            // v_accvgpr read vgpr after write vgpr: 2 wait states
ds_bpermute_b32 v5, v0, v5, offset:8               // permute edge values
s_waitcnt 0                                        // wait for swizzle operation
v_accvgpr_write_b32 acc34, v5                      // 
v_accvgpr_read_b32 v5, acc35                       // glvw 2 mb 0 tt1 19 r 0
s_nop 1                                            // v_accvgpr read vgpr after write vgpr: 2 wait states
ds_bpermute_b32 v5, v0, v5, offset:8               // permute edge values
s_waitcnt 0                                        // wait for swizzle operation
v_accvgpr_write_b32 acc35, v5                      // 
v_accvgpr_read_b32 v5, acc36                       // glvw 2 mb 0 tt1 20 r 0
s_nop 1                                            // v_accvgpr read vgpr after write vgpr: 2 wait states
ds_bpermute_b32 v5, v0, v5, offset:8               // permute edge values
s_waitcnt 0                                        // wait for swizzle operation
v_accvgpr_write_b32 acc36, v5                      // 
v_accvgpr_read_b32 v5, acc37                       // glvw 2 mb 0 tt1 21 r 0
s_nop 1                                            // v_accvgpr read vgpr after write vgpr: 2 wait states
ds_bpermute_b32 v5, v0, v5, offset:8               // permute edge values
s_waitcnt 0                                        // wait for swizzle operation
v_accvgpr_write_b32 acc37, v5                      // 
v_accvgpr_read_b32 v5, acc38                       // glvw 2 mb 0 tt1 22 r 0
s_nop 1                                            // v_accvgpr read vgpr after write vgpr: 2 wait states
ds_bpermute_b32 v5, v0, v5, offset:8               // permute edge values
s_waitcnt 0                                        // wait for swizzle operation
v_accvgpr_write_b32 acc38, v5                      // 
v_accvgpr_read_b32 v5, acc39                       // glvw 2 mb 0 tt1 23 r 0
s_nop 1                                            // v_accvgpr read vgpr after write vgpr: 2 wait states
ds_bpermute_b32 v5, v0, v5, offset:8               // permute edge values
s_waitcnt 0                                        // wait for swizzle operation
v_accvgpr_write_b32 acc39, v5                      // 
v_accvgpr_read_b32 v5, acc40                       // glvw 2 mb 0 tt1 24 r 0
s_nop 1                                            // v_accvgpr read vgpr after write vgpr: 2 wait states
ds_bpermute_b32 v5, v0, v5, offset:8               // permute edge values
s_waitcnt 0                                        // wait for swizzle operation
v_accvgpr_write_b32 acc40, v5                      // 
v_accvgpr_read_b32 v5, acc41                       // glvw 2 mb 0 tt1 25 r 0
s_nop 1                                            // v_accvgpr read vgpr after write vgpr: 2 wait states
ds_bpermute_b32 v5, v0, v5, offset:8               // permute edge values
s_waitcnt 0                                        // wait for swizzle operation
v_accvgpr_write_b32 acc41, v5                      // 
v_accvgpr_read_b32 v5, acc42                       // glvw 2 mb 0 tt1 26 r 0
s_nop 1                                            // v_accvgpr read vgpr after write vgpr: 2 wait states
ds_bpermute_b32 v5, v0, v5, offset:8               // permute edge values
s_waitcnt 0                                        // wait for swizzle operation
v_accvgpr_write_b32 acc42, v5                      // 
v_accvgpr_read_b32 v5, acc43                       // glvw 2 mb 0 tt1 27 r 0
s_nop 1                                            // v_accvgpr read vgpr after write vgpr: 2 wait states
ds_bpermute_b32 v5, v0, v5, offset:8               // permute edge values
s_waitcnt 0                                        // wait for swizzle operation
v_accvgpr_write_b32 acc43, v5                      // 
v_accvgpr_read_b32 v5, acc44                       // glvw 2 mb 0 tt1 28 r 0
s_nop 1                                            // v_accvgpr read vgpr after write vgpr: 2 wait states
ds_bpermute_b32 v5, v0, v5, offset:8               // permute edge values
s_waitcnt 0                                        // wait for swizzle operation
v_accvgpr_write_b32 acc44, v5                      // 
v_accvgpr_read_b32 v5, acc45                       // glvw 2 mb 0 tt1 29 r 0
s_nop 1                                            // v_accvgpr read vgpr after write vgpr: 2 wait states
ds_bpermute_b32 v5, v0, v5, offset:8               // permute edge values
s_waitcnt 0                                        // wait for swizzle operation
v_accvgpr_write_b32 acc45, v5                      // 
v_accvgpr_read_b32 v5, acc46                       // glvw 2 mb 0 tt1 30 r 0
s_nop 1                                            // v_accvgpr read vgpr after write vgpr: 2 wait states
ds_bpermute_b32 v5, v0, v5, offset:8               // permute edge values
s_waitcnt 0                                        // wait for swizzle operation
v_accvgpr_write_b32 acc46, v5                      // 
v_accvgpr_read_b32 v5, acc47                       // glvw 2 mb 0 tt1 31 r 0
s_nop 1                                            // v_accvgpr read vgpr after write vgpr: 2 wait states
ds_bpermute_b32 v5, v0, v5, offset:8               // permute edge values
s_waitcnt 0                                        // wait for swizzle operation
v_accvgpr_write_b32 acc47, v5                      // 
v_accvgpr_read_b32 v5, acc64                       // glvw 2 mb 0 tt1 32 r 0
s_nop 1                                            // v_accvgpr read vgpr after write vgpr: 2 wait states
ds_bpermute_b32 v5, v0, v5, offset:8               // permute edge values
s_waitcnt 0                                        // wait for swizzle operation
v_accvgpr_write_b32 acc64, v5                      // 
v_accvgpr_read_b32 v5, acc65                       // glvw 2 mb 0 tt1 33 r 0
s_nop 1                                            // v_accvgpr read vgpr after write vgpr: 2 wait states
ds_bpermute_b32 v5, v0, v5, offset:8               // permute edge values
s_waitcnt 0                                        // wait for swizzle operation
v_accvgpr_write_b32 acc65, v5                      // 
v_accvgpr_read_b32 v5, acc66                       // glvw 2 mb 0 tt1 34 r 0
s_nop 1                                            // v_accvgpr read vgpr after write vgpr: 2 wait states
ds_bpermute_b32 v5, v0, v5, offset:8               // permute edge values
s_waitcnt 0                                        // wait for swizzle operation
v_accvgpr_write_b32 acc66, v5                      // 
v_accvgpr_read_b32 v5, acc67                       // glvw 2 mb 0 tt1 35 r 0
s_nop 1                                            // v_accvgpr read vgpr after write vgpr: 2 wait states
ds_bpermute_b32 v5, v0, v5, offset:8               // permute edge values
s_waitcnt 0                                        // wait for swizzle operation
v_accvgpr_write_b32 acc67, v5                      // 
v_accvgpr_read_b32 v5, acc68                       // glvw 2 mb 0 tt1 36 r 0
s_nop 1                                            // v_accvgpr read vgpr after write vgpr: 2 wait states
ds_bpermute_b32 v5, v0, v5, offset:8               // permute edge values
s_waitcnt 0                                        // wait for swizzle operation
v_accvgpr_write_b32 acc68, v5                      // 
v_accvgpr_read_b32 v5, acc69                       // glvw 2 mb 0 tt1 37 r 0
s_nop 1                                            // v_accvgpr read vgpr after write vgpr: 2 wait states
ds_bpermute_b32 v5, v0, v5, offset:8               // permute edge values
s_waitcnt 0                                        // wait for swizzle operation
v_accvgpr_write_b32 acc69, v5                      // 
v_accvgpr_read_b32 v5, acc70                       // glvw 2 mb 0 tt1 38 r 0
s_nop 1                                            // v_accvgpr read vgpr after write vgpr: 2 wait states
ds_bpermute_b32 v5, v0, v5, offset:8               // permute edge values
s_waitcnt 0                                        // wait for swizzle operation
v_accvgpr_write_b32 acc70, v5                      // 
v_accvgpr_read_b32 v5, acc71                       // glvw 2 mb 0 tt1 39 r 0
s_nop 1                                            // v_accvgpr read vgpr after write vgpr: 2 wait states
ds_bpermute_b32 v5, v0, v5, offset:8               // permute edge values
s_waitcnt 0                                        // wait for swizzle operation
v_accvgpr_write_b32 acc71, v5                      // 
v_accvgpr_read_b32 v5, acc72                       // glvw 2 mb 0 tt1 40 r 0
s_nop 1                                            // v_accvgpr read vgpr after write vgpr: 2 wait states
ds_bpermute_b32 v5, v0, v5, offset:8               // permute edge values
s_waitcnt 0                                        // wait for swizzle operation
v_accvgpr_write_b32 acc72, v5                      // 
v_accvgpr_read_b32 v5, acc73                       // glvw 2 mb 0 tt1 41 r 0
s_nop 1                                            // v_accvgpr read vgpr after write vgpr: 2 wait states
ds_bpermute_b32 v5, v0, v5, offset:8               // permute edge values
s_waitcnt 0                                        // wait for swizzle operation
v_accvgpr_write_b32 acc73, v5                      // 
v_accvgpr_read_b32 v5, acc74                       // glvw 2 mb 0 tt1 42 r 0
s_nop 1                                            // v_accvgpr read vgpr after write vgpr: 2 wait states
ds_bpermute_b32 v5, v0, v5, offset:8               // permute edge values
s_waitcnt 0                                        // wait for swizzle operation
v_accvgpr_write_b32 acc74, v5                      // 
v_accvgpr_read_b32 v5, acc75                       // glvw 2 mb 0 tt1 43 r 0
s_nop 1                                            // v_accvgpr read vgpr after write vgpr: 2 wait states
ds_bpermute_b32 v5, v0, v5, offset:8               // permute edge values
s_waitcnt 0                                        // wait for swizzle operation
v_accvgpr_write_b32 acc75, v5                      // 
v_accvgpr_read_b32 v5, acc76                       // glvw 2 mb 0 tt1 44 r 0
s_nop 1                                            // v_accvgpr read vgpr after write vgpr: 2 wait states
ds_bpermute_b32 v5, v0, v5, offset:8               // permute edge values
s_waitcnt 0                                        // wait for swizzle operation
v_accvgpr_write_b32 acc76, v5                      // 
v_accvgpr_read_b32 v5, acc77                       // glvw 2 mb 0 tt1 45 r 0
s_nop 1                                            // v_accvgpr read vgpr after write vgpr: 2 wait states
ds_bpermute_b32 v5, v0, v5, offset:8               // permute edge values
s_waitcnt 0                                        // wait for swizzle operation
v_accvgpr_write_b32 acc77, v5                      // 
v_accvgpr_read_b32 v5, acc78                       // glvw 2 mb 0 tt1 46 r 0
s_nop 1                                            // v_accvgpr read vgpr after write vgpr: 2 wait states
ds_bpermute_b32 v5, v0, v5, offset:8               // permute edge values
s_waitcnt 0                                        // wait for swizzle operation
v_accvgpr_write_b32 acc78, v5                      // 
v_accvgpr_read_b32 v5, acc79                       // glvw 2 mb 0 tt1 47 r 0
s_nop 1                                            // v_accvgpr read vgpr after write vgpr: 2 wait states
ds_bpermute_b32 v5, v0, v5, offset:8               // permute edge values
s_waitcnt 0                                        // wait for swizzle operation
v_accvgpr_write_b32 acc79, v5                      // 
s_mov_b64 s[10:11], 0xFFFFFFFFFFFFFFFF             // to restore all threads active
s_or_saveexec_b64 vcc, s[10:11]                    // all threads active
s_branch label_0034                                // done shifting


/******************************************/
/* shift d0 r=2 mb=1 vw0                  */
/******************************************/
label_0028: // r2 mb1 vw0 
s_mov_b32 s10, 16                                  // 
_v_cmpx_eq_u32 s[10:11], v4, s10                   // is thread in edge glvw region
v_and_b32 v0, 63, v[vgprSerial]                    // permute register between threads
v_lshlrev_b32 v0, 2, v0                            // permute register between threads
v_accvgpr_read_b32 v5, acc16                       // glvw 2 mb 1 tt1 0 r 0
s_nop 1                                            // v_accvgpr read vgpr after write vgpr: 2 wait states
ds_bpermute_b32 v5, v0, v5, offset:8               // permute edge values
s_waitcnt 0                                        // wait for swizzle operation
v_accvgpr_write_b32 acc16, v5                      // 
v_accvgpr_read_b32 v5, acc17                       // glvw 2 mb 1 tt1 1 r 0
s_nop 1                                            // v_accvgpr read vgpr after write vgpr: 2 wait states
ds_bpermute_b32 v5, v0, v5, offset:8               // permute edge values
s_waitcnt 0                                        // wait for swizzle operation
v_accvgpr_write_b32 acc17, v5                      // 
v_accvgpr_read_b32 v5, acc18                       // glvw 2 mb 1 tt1 2 r 0
s_nop 1                                            // v_accvgpr read vgpr after write vgpr: 2 wait states
ds_bpermute_b32 v5, v0, v5, offset:8               // permute edge values
s_waitcnt 0                                        // wait for swizzle operation
v_accvgpr_write_b32 acc18, v5                      // 
v_accvgpr_read_b32 v5, acc19                       // glvw 2 mb 1 tt1 3 r 0
s_nop 1                                            // v_accvgpr read vgpr after write vgpr: 2 wait states
ds_bpermute_b32 v5, v0, v5, offset:8               // permute edge values
s_waitcnt 0                                        // wait for swizzle operation
v_accvgpr_write_b32 acc19, v5                      // 
v_accvgpr_read_b32 v5, acc20                       // glvw 2 mb 1 tt1 4 r 0
s_nop 1                                            // v_accvgpr read vgpr after write vgpr: 2 wait states
ds_bpermute_b32 v5, v0, v5, offset:8               // permute edge values
s_waitcnt 0                                        // wait for swizzle operation
v_accvgpr_write_b32 acc20, v5                      // 
v_accvgpr_read_b32 v5, acc21                       // glvw 2 mb 1 tt1 5 r 0
s_nop 1                                            // v_accvgpr read vgpr after write vgpr: 2 wait states
ds_bpermute_b32 v5, v0, v5, offset:8               // permute edge values
s_waitcnt 0                                        // wait for swizzle operation
v_accvgpr_write_b32 acc21, v5                      // 
v_accvgpr_read_b32 v5, acc22                       // glvw 2 mb 1 tt1 6 r 0
s_nop 1                                            // v_accvgpr read vgpr after write vgpr: 2 wait states
ds_bpermute_b32 v5, v0, v5, offset:8               // permute edge values
s_waitcnt 0                                        // wait for swizzle operation
v_accvgpr_write_b32 acc22, v5                      // 
v_accvgpr_read_b32 v5, acc23                       // glvw 2 mb 1 tt1 7 r 0
s_nop 1                                            // v_accvgpr read vgpr after write vgpr: 2 wait states
ds_bpermute_b32 v5, v0, v5, offset:8               // permute edge values
s_waitcnt 0                                        // wait for swizzle operation
v_accvgpr_write_b32 acc23, v5                      // 
v_accvgpr_read_b32 v5, acc24                       // glvw 2 mb 1 tt1 8 r 0
s_nop 1                                            // v_accvgpr read vgpr after write vgpr: 2 wait states
ds_bpermute_b32 v5, v0, v5, offset:8               // permute edge values
s_waitcnt 0                                        // wait for swizzle operation
v_accvgpr_write_b32 acc24, v5                      // 
v_accvgpr_read_b32 v5, acc25                       // glvw 2 mb 1 tt1 9 r 0
s_nop 1                                            // v_accvgpr read vgpr after write vgpr: 2 wait states
ds_bpermute_b32 v5, v0, v5, offset:8               // permute edge values
s_waitcnt 0                                        // wait for swizzle operation
v_accvgpr_write_b32 acc25, v5                      // 
v_accvgpr_read_b32 v5, acc26                       // glvw 2 mb 1 tt1 10 r 0
s_nop 1                                            // v_accvgpr read vgpr after write vgpr: 2 wait states
ds_bpermute_b32 v5, v0, v5, offset:8               // permute edge values
s_waitcnt 0                                        // wait for swizzle operation
v_accvgpr_write_b32 acc26, v5                      // 
v_accvgpr_read_b32 v5, acc27                       // glvw 2 mb 1 tt1 11 r 0
s_nop 1                                            // v_accvgpr read vgpr after write vgpr: 2 wait states
ds_bpermute_b32 v5, v0, v5, offset:8               // permute edge values
s_waitcnt 0                                        // wait for swizzle operation
v_accvgpr_write_b32 acc27, v5                      // 
v_accvgpr_read_b32 v5, acc28                       // glvw 2 mb 1 tt1 12 r 0
s_nop 1                                            // v_accvgpr read vgpr after write vgpr: 2 wait states
ds_bpermute_b32 v5, v0, v5, offset:8               // permute edge values
s_waitcnt 0                                        // wait for swizzle operation
v_accvgpr_write_b32 acc28, v5                      // 
v_accvgpr_read_b32 v5, acc29                       // glvw 2 mb 1 tt1 13 r 0
s_nop 1                                            // v_accvgpr read vgpr after write vgpr: 2 wait states
ds_bpermute_b32 v5, v0, v5, offset:8               // permute edge values
s_waitcnt 0                                        // wait for swizzle operation
v_accvgpr_write_b32 acc29, v5                      // 
v_accvgpr_read_b32 v5, acc30                       // glvw 2 mb 1 tt1 14 r 0
s_nop 1                                            // v_accvgpr read vgpr after write vgpr: 2 wait states
ds_bpermute_b32 v5, v0, v5, offset:8               // permute edge values
s_waitcnt 0                                        // wait for swizzle operation
v_accvgpr_write_b32 acc30, v5                      // 
v_accvgpr_read_b32 v5, acc31                       // glvw 2 mb 1 tt1 15 r 0
s_nop 1                                            // v_accvgpr read vgpr after write vgpr: 2 wait states
ds_bpermute_b32 v5, v0, v5, offset:8               // permute edge values
s_waitcnt 0                                        // wait for swizzle operation
v_accvgpr_write_b32 acc31, v5                      // 
v_accvgpr_read_b32 v5, acc48                       // glvw 2 mb 1 tt1 16 r 0
s_nop 1                                            // v_accvgpr read vgpr after write vgpr: 2 wait states
ds_bpermute_b32 v5, v0, v5, offset:8               // permute edge values
s_waitcnt 0                                        // wait for swizzle operation
v_accvgpr_write_b32 acc48, v5                      // 
v_accvgpr_read_b32 v5, acc49                       // glvw 2 mb 1 tt1 17 r 0
s_nop 1                                            // v_accvgpr read vgpr after write vgpr: 2 wait states
ds_bpermute_b32 v5, v0, v5, offset:8               // permute edge values
s_waitcnt 0                                        // wait for swizzle operation
v_accvgpr_write_b32 acc49, v5                      // 
v_accvgpr_read_b32 v5, acc50                       // glvw 2 mb 1 tt1 18 r 0
s_nop 1                                            // v_accvgpr read vgpr after write vgpr: 2 wait states
ds_bpermute_b32 v5, v0, v5, offset:8               // permute edge values
s_waitcnt 0                                        // wait for swizzle operation
v_accvgpr_write_b32 acc50, v5                      // 
v_accvgpr_read_b32 v5, acc51                       // glvw 2 mb 1 tt1 19 r 0
s_nop 1                                            // v_accvgpr read vgpr after write vgpr: 2 wait states
ds_bpermute_b32 v5, v0, v5, offset:8               // permute edge values
s_waitcnt 0                                        // wait for swizzle operation
v_accvgpr_write_b32 acc51, v5                      // 
v_accvgpr_read_b32 v5, acc52                       // glvw 2 mb 1 tt1 20 r 0
s_nop 1                                            // v_accvgpr read vgpr after write vgpr: 2 wait states
ds_bpermute_b32 v5, v0, v5, offset:8               // permute edge values
s_waitcnt 0                                        // wait for swizzle operation
v_accvgpr_write_b32 acc52, v5                      // 
v_accvgpr_read_b32 v5, acc53                       // glvw 2 mb 1 tt1 21 r 0
s_nop 1                                            // v_accvgpr read vgpr after write vgpr: 2 wait states
ds_bpermute_b32 v5, v0, v5, offset:8               // permute edge values
s_waitcnt 0                                        // wait for swizzle operation
v_accvgpr_write_b32 acc53, v5                      // 
v_accvgpr_read_b32 v5, acc54                       // glvw 2 mb 1 tt1 22 r 0
s_nop 1                                            // v_accvgpr read vgpr after write vgpr: 2 wait states
ds_bpermute_b32 v5, v0, v5, offset:8               // permute edge values
s_waitcnt 0                                        // wait for swizzle operation
v_accvgpr_write_b32 acc54, v5                      // 
v_accvgpr_read_b32 v5, acc55                       // glvw 2 mb 1 tt1 23 r 0
s_nop 1                                            // v_accvgpr read vgpr after write vgpr: 2 wait states
ds_bpermute_b32 v5, v0, v5, offset:8               // permute edge values
s_waitcnt 0                                        // wait for swizzle operation
v_accvgpr_write_b32 acc55, v5                      // 
v_accvgpr_read_b32 v5, acc56                       // glvw 2 mb 1 tt1 24 r 0
s_nop 1                                            // v_accvgpr read vgpr after write vgpr: 2 wait states
ds_bpermute_b32 v5, v0, v5, offset:8               // permute edge values
s_waitcnt 0                                        // wait for swizzle operation
v_accvgpr_write_b32 acc56, v5                      // 
v_accvgpr_read_b32 v5, acc57                       // glvw 2 mb 1 tt1 25 r 0
s_nop 1                                            // v_accvgpr read vgpr after write vgpr: 2 wait states
ds_bpermute_b32 v5, v0, v5, offset:8               // permute edge values
s_waitcnt 0                                        // wait for swizzle operation
v_accvgpr_write_b32 acc57, v5                      // 
v_accvgpr_read_b32 v5, acc58                       // glvw 2 mb 1 tt1 26 r 0
s_nop 1                                            // v_accvgpr read vgpr after write vgpr: 2 wait states
ds_bpermute_b32 v5, v0, v5, offset:8               // permute edge values
s_waitcnt 0                                        // wait for swizzle operation
v_accvgpr_write_b32 acc58, v5                      // 
v_accvgpr_read_b32 v5, acc59                       // glvw 2 mb 1 tt1 27 r 0
s_nop 1                                            // v_accvgpr read vgpr after write vgpr: 2 wait states
ds_bpermute_b32 v5, v0, v5, offset:8               // permute edge values
s_waitcnt 0                                        // wait for swizzle operation
v_accvgpr_write_b32 acc59, v5                      // 
v_accvgpr_read_b32 v5, acc60                       // glvw 2 mb 1 tt1 28 r 0
s_nop 1                                            // v_accvgpr read vgpr after write vgpr: 2 wait states
ds_bpermute_b32 v5, v0, v5, offset:8               // permute edge values
s_waitcnt 0                                        // wait for swizzle operation
v_accvgpr_write_b32 acc60, v5                      // 
v_accvgpr_read_b32 v5, acc61                       // glvw 2 mb 1 tt1 29 r 0
s_nop 1                                            // v_accvgpr read vgpr after write vgpr: 2 wait states
ds_bpermute_b32 v5, v0, v5, offset:8               // permute edge values
s_waitcnt 0                                        // wait for swizzle operation
v_accvgpr_write_b32 acc61, v5                      // 
v_accvgpr_read_b32 v5, acc62                       // glvw 2 mb 1 tt1 30 r 0
s_nop 1                                            // v_accvgpr read vgpr after write vgpr: 2 wait states
ds_bpermute_b32 v5, v0, v5, offset:8               // permute edge values
s_waitcnt 0                                        // wait for swizzle operation
v_accvgpr_write_b32 acc62, v5                      // 
v_accvgpr_read_b32 v5, acc63                       // glvw 2 mb 1 tt1 31 r 0
s_nop 1                                            // v_accvgpr read vgpr after write vgpr: 2 wait states
ds_bpermute_b32 v5, v0, v5, offset:8               // permute edge values
s_waitcnt 0                                        // wait for swizzle operation
v_accvgpr_write_b32 acc63, v5                      // 
v_accvgpr_read_b32 v5, acc80                       // glvw 2 mb 1 tt1 32 r 0
s_nop 1                                            // v_accvgpr read vgpr after write vgpr: 2 wait states
ds_bpermute_b32 v5, v0, v5, offset:8               // permute edge values
s_waitcnt 0                                        // wait for swizzle operation
v_accvgpr_write_b32 acc80, v5                      // 
v_accvgpr_read_b32 v5, acc81                       // glvw 2 mb 1 tt1 33 r 0
s_nop 1                                            // v_accvgpr read vgpr after write vgpr: 2 wait states
ds_bpermute_b32 v5, v0, v5, offset:8               // permute edge values
s_waitcnt 0                                        // wait for swizzle operation
v_accvgpr_write_b32 acc81, v5                      // 
v_accvgpr_read_b32 v5, acc82                       // glvw 2 mb 1 tt1 34 r 0
s_nop 1                                            // v_accvgpr read vgpr after write vgpr: 2 wait states
ds_bpermute_b32 v5, v0, v5, offset:8               // permute edge values
s_waitcnt 0                                        // wait for swizzle operation
v_accvgpr_write_b32 acc82, v5                      // 
v_accvgpr_read_b32 v5, acc83                       // glvw 2 mb 1 tt1 35 r 0
s_nop 1                                            // v_accvgpr read vgpr after write vgpr: 2 wait states
ds_bpermute_b32 v5, v0, v5, offset:8               // permute edge values
s_waitcnt 0                                        // wait for swizzle operation
v_accvgpr_write_b32 acc83, v5                      // 
v_accvgpr_read_b32 v5, acc84                       // glvw 2 mb 1 tt1 36 r 0
s_nop 1                                            // v_accvgpr read vgpr after write vgpr: 2 wait states
ds_bpermute_b32 v5, v0, v5, offset:8               // permute edge values
s_waitcnt 0                                        // wait for swizzle operation
v_accvgpr_write_b32 acc84, v5                      // 
v_accvgpr_read_b32 v5, acc85                       // glvw 2 mb 1 tt1 37 r 0
s_nop 1                                            // v_accvgpr read vgpr after write vgpr: 2 wait states
ds_bpermute_b32 v5, v0, v5, offset:8               // permute edge values
s_waitcnt 0                                        // wait for swizzle operation
v_accvgpr_write_b32 acc85, v5                      // 
v_accvgpr_read_b32 v5, acc86                       // glvw 2 mb 1 tt1 38 r 0
s_nop 1                                            // v_accvgpr read vgpr after write vgpr: 2 wait states
ds_bpermute_b32 v5, v0, v5, offset:8               // permute edge values
s_waitcnt 0                                        // wait for swizzle operation
v_accvgpr_write_b32 acc86, v5                      // 
v_accvgpr_read_b32 v5, acc87                       // glvw 2 mb 1 tt1 39 r 0
s_nop 1                                            // v_accvgpr read vgpr after write vgpr: 2 wait states
ds_bpermute_b32 v5, v0, v5, offset:8               // permute edge values
s_waitcnt 0                                        // wait for swizzle operation
v_accvgpr_write_b32 acc87, v5                      // 
v_accvgpr_read_b32 v5, acc88                       // glvw 2 mb 1 tt1 40 r 0
s_nop 1                                            // v_accvgpr read vgpr after write vgpr: 2 wait states
ds_bpermute_b32 v5, v0, v5, offset:8               // permute edge values
s_waitcnt 0                                        // wait for swizzle operation
v_accvgpr_write_b32 acc88, v5                      // 
v_accvgpr_read_b32 v5, acc89                       // glvw 2 mb 1 tt1 41 r 0
s_nop 1                                            // v_accvgpr read vgpr after write vgpr: 2 wait states
ds_bpermute_b32 v5, v0, v5, offset:8               // permute edge values
s_waitcnt 0                                        // wait for swizzle operation
v_accvgpr_write_b32 acc89, v5                      // 
v_accvgpr_read_b32 v5, acc90                       // glvw 2 mb 1 tt1 42 r 0
s_nop 1                                            // v_accvgpr read vgpr after write vgpr: 2 wait states
ds_bpermute_b32 v5, v0, v5, offset:8               // permute edge values
s_waitcnt 0                                        // wait for swizzle operation
v_accvgpr_write_b32 acc90, v5                      // 
v_accvgpr_read_b32 v5, acc91                       // glvw 2 mb 1 tt1 43 r 0
s_nop 1                                            // v_accvgpr read vgpr after write vgpr: 2 wait states
ds_bpermute_b32 v5, v0, v5, offset:8               // permute edge values
s_waitcnt 0                                        // wait for swizzle operation
v_accvgpr_write_b32 acc91, v5                      // 
v_accvgpr_read_b32 v5, acc92                       // glvw 2 mb 1 tt1 44 r 0
s_nop 1                                            // v_accvgpr read vgpr after write vgpr: 2 wait states
ds_bpermute_b32 v5, v0, v5, offset:8               // permute edge values
s_waitcnt 0                                        // wait for swizzle operation
v_accvgpr_write_b32 acc92, v5                      // 
v_accvgpr_read_b32 v5, acc93                       // glvw 2 mb 1 tt1 45 r 0
s_nop 1                                            // v_accvgpr read vgpr after write vgpr: 2 wait states
ds_bpermute_b32 v5, v0, v5, offset:8               // permute edge values
s_waitcnt 0                                        // wait for swizzle operation
v_accvgpr_write_b32 acc93, v5                      // 
v_accvgpr_read_b32 v5, acc94                       // glvw 2 mb 1 tt1 46 r 0
s_nop 1                                            // v_accvgpr read vgpr after write vgpr: 2 wait states
ds_bpermute_b32 v5, v0, v5, offset:8               // permute edge values
s_waitcnt 0                                        // wait for swizzle operation
v_accvgpr_write_b32 acc94, v5                      // 
v_accvgpr_read_b32 v5, acc95                       // glvw 2 mb 1 tt1 47 r 0
s_nop 1                                            // v_accvgpr read vgpr after write vgpr: 2 wait states
ds_bpermute_b32 v5, v0, v5, offset:8               // permute edge values
s_waitcnt 0                                        // wait for swizzle operation
v_accvgpr_write_b32 acc95, v5                      // 
s_mov_b64 s[10:11], 0xFFFFFFFFFFFFFFFF             // to restore all threads active
s_or_saveexec_b64 vcc, s[10:11]                    // all threads active
s_branch label_0034                                // done shifting


/******************************************/
/* shift d0 r=3 mb=0 vw0                  */
/******************************************/
label_0031: // r3 mb0 vw0 
s_mov_b32 s10, 0                                   // 
_v_cmpx_eq_u32 s[10:11], v4, s10                   // is thread in edge glvw region
v_and_b32 v0, 63, v[vgprSerial]                    // permute register between threads
v_lshlrev_b32 v0, 2, v0                            // permute register between threads
v_accvgpr_read_b32 v5, acc0                        // glvw 3 mb 0 tt1 0 r 0
s_nop 1                                            // v_accvgpr read vgpr after write vgpr: 2 wait states
ds_bpermute_b32 v5, v0, v5, offset:4               // permute edge values
s_waitcnt 0                                        // wait for swizzle operation
v_accvgpr_write_b32 acc0, v5                       // 
v_accvgpr_read_b32 v5, acc1                        // glvw 3 mb 0 tt1 1 r 0
s_nop 1                                            // v_accvgpr read vgpr after write vgpr: 2 wait states
ds_bpermute_b32 v5, v0, v5, offset:4               // permute edge values
s_waitcnt 0                                        // wait for swizzle operation
v_accvgpr_write_b32 acc1, v5                       // 
v_accvgpr_read_b32 v5, acc2                        // glvw 3 mb 0 tt1 2 r 0
s_nop 1                                            // v_accvgpr read vgpr after write vgpr: 2 wait states
ds_bpermute_b32 v5, v0, v5, offset:4               // permute edge values
s_waitcnt 0                                        // wait for swizzle operation
v_accvgpr_write_b32 acc2, v5                       // 
v_accvgpr_read_b32 v5, acc3                        // glvw 3 mb 0 tt1 3 r 0
s_nop 1                                            // v_accvgpr read vgpr after write vgpr: 2 wait states
ds_bpermute_b32 v5, v0, v5, offset:4               // permute edge values
s_waitcnt 0                                        // wait for swizzle operation
v_accvgpr_write_b32 acc3, v5                       // 
v_accvgpr_read_b32 v5, acc4                        // glvw 3 mb 0 tt1 4 r 0
s_nop 1                                            // v_accvgpr read vgpr after write vgpr: 2 wait states
ds_bpermute_b32 v5, v0, v5, offset:4               // permute edge values
s_waitcnt 0                                        // wait for swizzle operation
v_accvgpr_write_b32 acc4, v5                       // 
v_accvgpr_read_b32 v5, acc5                        // glvw 3 mb 0 tt1 5 r 0
s_nop 1                                            // v_accvgpr read vgpr after write vgpr: 2 wait states
ds_bpermute_b32 v5, v0, v5, offset:4               // permute edge values
s_waitcnt 0                                        // wait for swizzle operation
v_accvgpr_write_b32 acc5, v5                       // 
v_accvgpr_read_b32 v5, acc6                        // glvw 3 mb 0 tt1 6 r 0
s_nop 1                                            // v_accvgpr read vgpr after write vgpr: 2 wait states
ds_bpermute_b32 v5, v0, v5, offset:4               // permute edge values
s_waitcnt 0                                        // wait for swizzle operation
v_accvgpr_write_b32 acc6, v5                       // 
v_accvgpr_read_b32 v5, acc7                        // glvw 3 mb 0 tt1 7 r 0
s_nop 1                                            // v_accvgpr read vgpr after write vgpr: 2 wait states
ds_bpermute_b32 v5, v0, v5, offset:4               // permute edge values
s_waitcnt 0                                        // wait for swizzle operation
v_accvgpr_write_b32 acc7, v5                       // 
v_accvgpr_read_b32 v5, acc8                        // glvw 3 mb 0 tt1 8 r 0
s_nop 1                                            // v_accvgpr read vgpr after write vgpr: 2 wait states
ds_bpermute_b32 v5, v0, v5, offset:4               // permute edge values
s_waitcnt 0                                        // wait for swizzle operation
v_accvgpr_write_b32 acc8, v5                       // 
v_accvgpr_read_b32 v5, acc9                        // glvw 3 mb 0 tt1 9 r 0
s_nop 1                                            // v_accvgpr read vgpr after write vgpr: 2 wait states
ds_bpermute_b32 v5, v0, v5, offset:4               // permute edge values
s_waitcnt 0                                        // wait for swizzle operation
v_accvgpr_write_b32 acc9, v5                       // 
v_accvgpr_read_b32 v5, acc10                       // glvw 3 mb 0 tt1 10 r 0
s_nop 1                                            // v_accvgpr read vgpr after write vgpr: 2 wait states
ds_bpermute_b32 v5, v0, v5, offset:4               // permute edge values
s_waitcnt 0                                        // wait for swizzle operation
v_accvgpr_write_b32 acc10, v5                      // 
v_accvgpr_read_b32 v5, acc11                       // glvw 3 mb 0 tt1 11 r 0
s_nop 1                                            // v_accvgpr read vgpr after write vgpr: 2 wait states
ds_bpermute_b32 v5, v0, v5, offset:4               // permute edge values
s_waitcnt 0                                        // wait for swizzle operation
v_accvgpr_write_b32 acc11, v5                      // 
v_accvgpr_read_b32 v5, acc12                       // glvw 3 mb 0 tt1 12 r 0
s_nop 1                                            // v_accvgpr read vgpr after write vgpr: 2 wait states
ds_bpermute_b32 v5, v0, v5, offset:4               // permute edge values
s_waitcnt 0                                        // wait for swizzle operation
v_accvgpr_write_b32 acc12, v5                      // 
v_accvgpr_read_b32 v5, acc13                       // glvw 3 mb 0 tt1 13 r 0
s_nop 1                                            // v_accvgpr read vgpr after write vgpr: 2 wait states
ds_bpermute_b32 v5, v0, v5, offset:4               // permute edge values
s_waitcnt 0                                        // wait for swizzle operation
v_accvgpr_write_b32 acc13, v5                      // 
v_accvgpr_read_b32 v5, acc14                       // glvw 3 mb 0 tt1 14 r 0
s_nop 1                                            // v_accvgpr read vgpr after write vgpr: 2 wait states
ds_bpermute_b32 v5, v0, v5, offset:4               // permute edge values
s_waitcnt 0                                        // wait for swizzle operation
v_accvgpr_write_b32 acc14, v5                      // 
v_accvgpr_read_b32 v5, acc15                       // glvw 3 mb 0 tt1 15 r 0
s_nop 1                                            // v_accvgpr read vgpr after write vgpr: 2 wait states
ds_bpermute_b32 v5, v0, v5, offset:4               // permute edge values
s_waitcnt 0                                        // wait for swizzle operation
v_accvgpr_write_b32 acc15, v5                      // 
v_accvgpr_read_b32 v5, acc32                       // glvw 3 mb 0 tt1 16 r 0
s_nop 1                                            // v_accvgpr read vgpr after write vgpr: 2 wait states
ds_bpermute_b32 v5, v0, v5, offset:4               // permute edge values
s_waitcnt 0                                        // wait for swizzle operation
v_accvgpr_write_b32 acc32, v5                      // 
v_accvgpr_read_b32 v5, acc33                       // glvw 3 mb 0 tt1 17 r 0
s_nop 1                                            // v_accvgpr read vgpr after write vgpr: 2 wait states
ds_bpermute_b32 v5, v0, v5, offset:4               // permute edge values
s_waitcnt 0                                        // wait for swizzle operation
v_accvgpr_write_b32 acc33, v5                      // 
v_accvgpr_read_b32 v5, acc34                       // glvw 3 mb 0 tt1 18 r 0
s_nop 1                                            // v_accvgpr read vgpr after write vgpr: 2 wait states
ds_bpermute_b32 v5, v0, v5, offset:4               // permute edge values
s_waitcnt 0                                        // wait for swizzle operation
v_accvgpr_write_b32 acc34, v5                      // 
v_accvgpr_read_b32 v5, acc35                       // glvw 3 mb 0 tt1 19 r 0
s_nop 1                                            // v_accvgpr read vgpr after write vgpr: 2 wait states
ds_bpermute_b32 v5, v0, v5, offset:4               // permute edge values
s_waitcnt 0                                        // wait for swizzle operation
v_accvgpr_write_b32 acc35, v5                      // 
v_accvgpr_read_b32 v5, acc36                       // glvw 3 mb 0 tt1 20 r 0
s_nop 1                                            // v_accvgpr read vgpr after write vgpr: 2 wait states
ds_bpermute_b32 v5, v0, v5, offset:4               // permute edge values
s_waitcnt 0                                        // wait for swizzle operation
v_accvgpr_write_b32 acc36, v5                      // 
v_accvgpr_read_b32 v5, acc37                       // glvw 3 mb 0 tt1 21 r 0
s_nop 1                                            // v_accvgpr read vgpr after write vgpr: 2 wait states
ds_bpermute_b32 v5, v0, v5, offset:4               // permute edge values
s_waitcnt 0                                        // wait for swizzle operation
v_accvgpr_write_b32 acc37, v5                      // 
v_accvgpr_read_b32 v5, acc38                       // glvw 3 mb 0 tt1 22 r 0
s_nop 1                                            // v_accvgpr read vgpr after write vgpr: 2 wait states
ds_bpermute_b32 v5, v0, v5, offset:4               // permute edge values
s_waitcnt 0                                        // wait for swizzle operation
v_accvgpr_write_b32 acc38, v5                      // 
v_accvgpr_read_b32 v5, acc39                       // glvw 3 mb 0 tt1 23 r 0
s_nop 1                                            // v_accvgpr read vgpr after write vgpr: 2 wait states
ds_bpermute_b32 v5, v0, v5, offset:4               // permute edge values
s_waitcnt 0                                        // wait for swizzle operation
v_accvgpr_write_b32 acc39, v5                      // 
v_accvgpr_read_b32 v5, acc40                       // glvw 3 mb 0 tt1 24 r 0
s_nop 1                                            // v_accvgpr read vgpr after write vgpr: 2 wait states
ds_bpermute_b32 v5, v0, v5, offset:4               // permute edge values
s_waitcnt 0                                        // wait for swizzle operation
v_accvgpr_write_b32 acc40, v5                      // 
v_accvgpr_read_b32 v5, acc41                       // glvw 3 mb 0 tt1 25 r 0
s_nop 1                                            // v_accvgpr read vgpr after write vgpr: 2 wait states
ds_bpermute_b32 v5, v0, v5, offset:4               // permute edge values
s_waitcnt 0                                        // wait for swizzle operation
v_accvgpr_write_b32 acc41, v5                      // 
v_accvgpr_read_b32 v5, acc42                       // glvw 3 mb 0 tt1 26 r 0
s_nop 1                                            // v_accvgpr read vgpr after write vgpr: 2 wait states
ds_bpermute_b32 v5, v0, v5, offset:4               // permute edge values
s_waitcnt 0                                        // wait for swizzle operation
v_accvgpr_write_b32 acc42, v5                      // 
v_accvgpr_read_b32 v5, acc43                       // glvw 3 mb 0 tt1 27 r 0
s_nop 1                                            // v_accvgpr read vgpr after write vgpr: 2 wait states
ds_bpermute_b32 v5, v0, v5, offset:4               // permute edge values
s_waitcnt 0                                        // wait for swizzle operation
v_accvgpr_write_b32 acc43, v5                      // 
v_accvgpr_read_b32 v5, acc44                       // glvw 3 mb 0 tt1 28 r 0
s_nop 1                                            // v_accvgpr read vgpr after write vgpr: 2 wait states
ds_bpermute_b32 v5, v0, v5, offset:4               // permute edge values
s_waitcnt 0                                        // wait for swizzle operation
v_accvgpr_write_b32 acc44, v5                      // 
v_accvgpr_read_b32 v5, acc45                       // glvw 3 mb 0 tt1 29 r 0
s_nop 1                                            // v_accvgpr read vgpr after write vgpr: 2 wait states
ds_bpermute_b32 v5, v0, v5, offset:4               // permute edge values
s_waitcnt 0                                        // wait for swizzle operation
v_accvgpr_write_b32 acc45, v5                      // 
v_accvgpr_read_b32 v5, acc46                       // glvw 3 mb 0 tt1 30 r 0
s_nop 1                                            // v_accvgpr read vgpr after write vgpr: 2 wait states
ds_bpermute_b32 v5, v0, v5, offset:4               // permute edge values
s_waitcnt 0                                        // wait for swizzle operation
v_accvgpr_write_b32 acc46, v5                      // 
v_accvgpr_read_b32 v5, acc47                       // glvw 3 mb 0 tt1 31 r 0
s_nop 1                                            // v_accvgpr read vgpr after write vgpr: 2 wait states
ds_bpermute_b32 v5, v0, v5, offset:4               // permute edge values
s_waitcnt 0                                        // wait for swizzle operation
v_accvgpr_write_b32 acc47, v5                      // 
v_accvgpr_read_b32 v5, acc64                       // glvw 3 mb 0 tt1 32 r 0
s_nop 1                                            // v_accvgpr read vgpr after write vgpr: 2 wait states
ds_bpermute_b32 v5, v0, v5, offset:4               // permute edge values
s_waitcnt 0                                        // wait for swizzle operation
v_accvgpr_write_b32 acc64, v5                      // 
v_accvgpr_read_b32 v5, acc65                       // glvw 3 mb 0 tt1 33 r 0
s_nop 1                                            // v_accvgpr read vgpr after write vgpr: 2 wait states
ds_bpermute_b32 v5, v0, v5, offset:4               // permute edge values
s_waitcnt 0                                        // wait for swizzle operation
v_accvgpr_write_b32 acc65, v5                      // 
v_accvgpr_read_b32 v5, acc66                       // glvw 3 mb 0 tt1 34 r 0
s_nop 1                                            // v_accvgpr read vgpr after write vgpr: 2 wait states
ds_bpermute_b32 v5, v0, v5, offset:4               // permute edge values
s_waitcnt 0                                        // wait for swizzle operation
v_accvgpr_write_b32 acc66, v5                      // 
v_accvgpr_read_b32 v5, acc67                       // glvw 3 mb 0 tt1 35 r 0
s_nop 1                                            // v_accvgpr read vgpr after write vgpr: 2 wait states
ds_bpermute_b32 v5, v0, v5, offset:4               // permute edge values
s_waitcnt 0                                        // wait for swizzle operation
v_accvgpr_write_b32 acc67, v5                      // 
v_accvgpr_read_b32 v5, acc68                       // glvw 3 mb 0 tt1 36 r 0
s_nop 1                                            // v_accvgpr read vgpr after write vgpr: 2 wait states
ds_bpermute_b32 v5, v0, v5, offset:4               // permute edge values
s_waitcnt 0                                        // wait for swizzle operation
v_accvgpr_write_b32 acc68, v5                      // 
v_accvgpr_read_b32 v5, acc69                       // glvw 3 mb 0 tt1 37 r 0
s_nop 1                                            // v_accvgpr read vgpr after write vgpr: 2 wait states
ds_bpermute_b32 v5, v0, v5, offset:4               // permute edge values
s_waitcnt 0                                        // wait for swizzle operation
v_accvgpr_write_b32 acc69, v5                      // 
v_accvgpr_read_b32 v5, acc70                       // glvw 3 mb 0 tt1 38 r 0
s_nop 1                                            // v_accvgpr read vgpr after write vgpr: 2 wait states
ds_bpermute_b32 v5, v0, v5, offset:4               // permute edge values
s_waitcnt 0                                        // wait for swizzle operation
v_accvgpr_write_b32 acc70, v5                      // 
v_accvgpr_read_b32 v5, acc71                       // glvw 3 mb 0 tt1 39 r 0
s_nop 1                                            // v_accvgpr read vgpr after write vgpr: 2 wait states
ds_bpermute_b32 v5, v0, v5, offset:4               // permute edge values
s_waitcnt 0                                        // wait for swizzle operation
v_accvgpr_write_b32 acc71, v5                      // 
v_accvgpr_read_b32 v5, acc72                       // glvw 3 mb 0 tt1 40 r 0
s_nop 1                                            // v_accvgpr read vgpr after write vgpr: 2 wait states
ds_bpermute_b32 v5, v0, v5, offset:4               // permute edge values
s_waitcnt 0                                        // wait for swizzle operation
v_accvgpr_write_b32 acc72, v5                      // 
v_accvgpr_read_b32 v5, acc73                       // glvw 3 mb 0 tt1 41 r 0
s_nop 1                                            // v_accvgpr read vgpr after write vgpr: 2 wait states
ds_bpermute_b32 v5, v0, v5, offset:4               // permute edge values
s_waitcnt 0                                        // wait for swizzle operation
v_accvgpr_write_b32 acc73, v5                      // 
v_accvgpr_read_b32 v5, acc74                       // glvw 3 mb 0 tt1 42 r 0
s_nop 1                                            // v_accvgpr read vgpr after write vgpr: 2 wait states
ds_bpermute_b32 v5, v0, v5, offset:4               // permute edge values
s_waitcnt 0                                        // wait for swizzle operation
v_accvgpr_write_b32 acc74, v5                      // 
v_accvgpr_read_b32 v5, acc75                       // glvw 3 mb 0 tt1 43 r 0
s_nop 1                                            // v_accvgpr read vgpr after write vgpr: 2 wait states
ds_bpermute_b32 v5, v0, v5, offset:4               // permute edge values
s_waitcnt 0                                        // wait for swizzle operation
v_accvgpr_write_b32 acc75, v5                      // 
v_accvgpr_read_b32 v5, acc76                       // glvw 3 mb 0 tt1 44 r 0
s_nop 1                                            // v_accvgpr read vgpr after write vgpr: 2 wait states
ds_bpermute_b32 v5, v0, v5, offset:4               // permute edge values
s_waitcnt 0                                        // wait for swizzle operation
v_accvgpr_write_b32 acc76, v5                      // 
v_accvgpr_read_b32 v5, acc77                       // glvw 3 mb 0 tt1 45 r 0
s_nop 1                                            // v_accvgpr read vgpr after write vgpr: 2 wait states
ds_bpermute_b32 v5, v0, v5, offset:4               // permute edge values
s_waitcnt 0                                        // wait for swizzle operation
v_accvgpr_write_b32 acc77, v5                      // 
v_accvgpr_read_b32 v5, acc78                       // glvw 3 mb 0 tt1 46 r 0
s_nop 1                                            // v_accvgpr read vgpr after write vgpr: 2 wait states
ds_bpermute_b32 v5, v0, v5, offset:4               // permute edge values
s_waitcnt 0                                        // wait for swizzle operation
v_accvgpr_write_b32 acc78, v5                      // 
v_accvgpr_read_b32 v5, acc79                       // glvw 3 mb 0 tt1 47 r 0
s_nop 1                                            // v_accvgpr read vgpr after write vgpr: 2 wait states
ds_bpermute_b32 v5, v0, v5, offset:4               // permute edge values
s_waitcnt 0                                        // wait for swizzle operation
v_accvgpr_write_b32 acc79, v5                      // 
s_mov_b64 s[10:11], 0xFFFFFFFFFFFFFFFF             // to restore all threads active
s_or_saveexec_b64 vcc, s[10:11]                    // all threads active
s_branch label_0034                                // done shifting


/******************************************/
/* shift d0 r=3 mb=1 vw0                  */
/******************************************/
label_0033: // r3 mb1 vw0 
s_mov_b32 s10, 16                                  // 
_v_cmpx_eq_u32 s[10:11], v4, s10                   // is thread in edge glvw region
v_and_b32 v0, 63, v[vgprSerial]                    // permute register between threads
v_lshlrev_b32 v0, 2, v0                            // permute register between threads
v_accvgpr_read_b32 v5, acc16                       // glvw 3 mb 1 tt1 0 r 0
s_nop 1                                            // v_accvgpr read vgpr after write vgpr: 2 wait states
ds_bpermute_b32 v5, v0, v5, offset:4               // permute edge values
s_waitcnt 0                                        // wait for swizzle operation
v_accvgpr_write_b32 acc16, v5                      // 
v_accvgpr_read_b32 v5, acc17                       // glvw 3 mb 1 tt1 1 r 0
s_nop 1                                            // v_accvgpr read vgpr after write vgpr: 2 wait states
ds_bpermute_b32 v5, v0, v5, offset:4               // permute edge values
s_waitcnt 0                                        // wait for swizzle operation
v_accvgpr_write_b32 acc17, v5                      // 
v_accvgpr_read_b32 v5, acc18                       // glvw 3 mb 1 tt1 2 r 0
s_nop 1                                            // v_accvgpr read vgpr after write vgpr: 2 wait states
ds_bpermute_b32 v5, v0, v5, offset:4               // permute edge values
s_waitcnt 0                                        // wait for swizzle operation
v_accvgpr_write_b32 acc18, v5                      // 
v_accvgpr_read_b32 v5, acc19                       // glvw 3 mb 1 tt1 3 r 0
s_nop 1                                            // v_accvgpr read vgpr after write vgpr: 2 wait states
ds_bpermute_b32 v5, v0, v5, offset:4               // permute edge values
s_waitcnt 0                                        // wait for swizzle operation
v_accvgpr_write_b32 acc19, v5                      // 
v_accvgpr_read_b32 v5, acc20                       // glvw 3 mb 1 tt1 4 r 0
s_nop 1                                            // v_accvgpr read vgpr after write vgpr: 2 wait states
ds_bpermute_b32 v5, v0, v5, offset:4               // permute edge values
s_waitcnt 0                                        // wait for swizzle operation
v_accvgpr_write_b32 acc20, v5                      // 
v_accvgpr_read_b32 v5, acc21                       // glvw 3 mb 1 tt1 5 r 0
s_nop 1                                            // v_accvgpr read vgpr after write vgpr: 2 wait states
ds_bpermute_b32 v5, v0, v5, offset:4               // permute edge values
s_waitcnt 0                                        // wait for swizzle operation
v_accvgpr_write_b32 acc21, v5                      // 
v_accvgpr_read_b32 v5, acc22                       // glvw 3 mb 1 tt1 6 r 0
s_nop 1                                            // v_accvgpr read vgpr after write vgpr: 2 wait states
ds_bpermute_b32 v5, v0, v5, offset:4               // permute edge values
s_waitcnt 0                                        // wait for swizzle operation
v_accvgpr_write_b32 acc22, v5                      // 
v_accvgpr_read_b32 v5, acc23                       // glvw 3 mb 1 tt1 7 r 0
s_nop 1                                            // v_accvgpr read vgpr after write vgpr: 2 wait states
ds_bpermute_b32 v5, v0, v5, offset:4               // permute edge values
s_waitcnt 0                                        // wait for swizzle operation
v_accvgpr_write_b32 acc23, v5                      // 
v_accvgpr_read_b32 v5, acc24                       // glvw 3 mb 1 tt1 8 r 0
s_nop 1                                            // v_accvgpr read vgpr after write vgpr: 2 wait states
ds_bpermute_b32 v5, v0, v5, offset:4               // permute edge values
s_waitcnt 0                                        // wait for swizzle operation
v_accvgpr_write_b32 acc24, v5                      // 
v_accvgpr_read_b32 v5, acc25                       // glvw 3 mb 1 tt1 9 r 0
s_nop 1                                            // v_accvgpr read vgpr after write vgpr: 2 wait states
ds_bpermute_b32 v5, v0, v5, offset:4               // permute edge values
s_waitcnt 0                                        // wait for swizzle operation
v_accvgpr_write_b32 acc25, v5                      // 
v_accvgpr_read_b32 v5, acc26                       // glvw 3 mb 1 tt1 10 r 0
s_nop 1                                            // v_accvgpr read vgpr after write vgpr: 2 wait states
ds_bpermute_b32 v5, v0, v5, offset:4               // permute edge values
s_waitcnt 0                                        // wait for swizzle operation
v_accvgpr_write_b32 acc26, v5                      // 
v_accvgpr_read_b32 v5, acc27                       // glvw 3 mb 1 tt1 11 r 0
s_nop 1                                            // v_accvgpr read vgpr after write vgpr: 2 wait states
ds_bpermute_b32 v5, v0, v5, offset:4               // permute edge values
s_waitcnt 0                                        // wait for swizzle operation
v_accvgpr_write_b32 acc27, v5                      // 
v_accvgpr_read_b32 v5, acc28                       // glvw 3 mb 1 tt1 12 r 0
s_nop 1                                            // v_accvgpr read vgpr after write vgpr: 2 wait states
ds_bpermute_b32 v5, v0, v5, offset:4               // permute edge values
s_waitcnt 0                                        // wait for swizzle operation
v_accvgpr_write_b32 acc28, v5                      // 
v_accvgpr_read_b32 v5, acc29                       // glvw 3 mb 1 tt1 13 r 0
s_nop 1                                            // v_accvgpr read vgpr after write vgpr: 2 wait states
ds_bpermute_b32 v5, v0, v5, offset:4               // permute edge values
s_waitcnt 0                                        // wait for swizzle operation
v_accvgpr_write_b32 acc29, v5                      // 
v_accvgpr_read_b32 v5, acc30                       // glvw 3 mb 1 tt1 14 r 0
s_nop 1                                            // v_accvgpr read vgpr after write vgpr: 2 wait states
ds_bpermute_b32 v5, v0, v5, offset:4               // permute edge values
s_waitcnt 0                                        // wait for swizzle operation
v_accvgpr_write_b32 acc30, v5                      // 
v_accvgpr_read_b32 v5, acc31                       // glvw 3 mb 1 tt1 15 r 0
s_nop 1                                            // v_accvgpr read vgpr after write vgpr: 2 wait states
ds_bpermute_b32 v5, v0, v5, offset:4               // permute edge values
s_waitcnt 0                                        // wait for swizzle operation
v_accvgpr_write_b32 acc31, v5                      // 
v_accvgpr_read_b32 v5, acc48                       // glvw 3 mb 1 tt1 16 r 0
s_nop 1                                            // v_accvgpr read vgpr after write vgpr: 2 wait states
ds_bpermute_b32 v5, v0, v5, offset:4               // permute edge values
s_waitcnt 0                                        // wait for swizzle operation
v_accvgpr_write_b32 acc48, v5                      // 
v_accvgpr_read_b32 v5, acc49                       // glvw 3 mb 1 tt1 17 r 0
s_nop 1                                            // v_accvgpr read vgpr after write vgpr: 2 wait states
ds_bpermute_b32 v5, v0, v5, offset:4               // permute edge values
s_waitcnt 0                                        // wait for swizzle operation
v_accvgpr_write_b32 acc49, v5                      // 
v_accvgpr_read_b32 v5, acc50                       // glvw 3 mb 1 tt1 18 r 0
s_nop 1                                            // v_accvgpr read vgpr after write vgpr: 2 wait states
ds_bpermute_b32 v5, v0, v5, offset:4               // permute edge values
s_waitcnt 0                                        // wait for swizzle operation
v_accvgpr_write_b32 acc50, v5                      // 
v_accvgpr_read_b32 v5, acc51                       // glvw 3 mb 1 tt1 19 r 0
s_nop 1                                            // v_accvgpr read vgpr after write vgpr: 2 wait states
ds_bpermute_b32 v5, v0, v5, offset:4               // permute edge values
s_waitcnt 0                                        // wait for swizzle operation
v_accvgpr_write_b32 acc51, v5                      // 
v_accvgpr_read_b32 v5, acc52                       // glvw 3 mb 1 tt1 20 r 0
s_nop 1                                            // v_accvgpr read vgpr after write vgpr: 2 wait states
ds_bpermute_b32 v5, v0, v5, offset:4               // permute edge values
s_waitcnt 0                                        // wait for swizzle operation
v_accvgpr_write_b32 acc52, v5                      // 
v_accvgpr_read_b32 v5, acc53                       // glvw 3 mb 1 tt1 21 r 0
s_nop 1                                            // v_accvgpr read vgpr after write vgpr: 2 wait states
ds_bpermute_b32 v5, v0, v5, offset:4               // permute edge values
s_waitcnt 0                                        // wait for swizzle operation
v_accvgpr_write_b32 acc53, v5                      // 
v_accvgpr_read_b32 v5, acc54                       // glvw 3 mb 1 tt1 22 r 0
s_nop 1                                            // v_accvgpr read vgpr after write vgpr: 2 wait states
ds_bpermute_b32 v5, v0, v5, offset:4               // permute edge values
s_waitcnt 0                                        // wait for swizzle operation
v_accvgpr_write_b32 acc54, v5                      // 
v_accvgpr_read_b32 v5, acc55                       // glvw 3 mb 1 tt1 23 r 0
s_nop 1                                            // v_accvgpr read vgpr after write vgpr: 2 wait states
ds_bpermute_b32 v5, v0, v5, offset:4               // permute edge values
s_waitcnt 0                                        // wait for swizzle operation
v_accvgpr_write_b32 acc55, v5                      // 
v_accvgpr_read_b32 v5, acc56                       // glvw 3 mb 1 tt1 24 r 0
s_nop 1                                            // v_accvgpr read vgpr after write vgpr: 2 wait states
ds_bpermute_b32 v5, v0, v5, offset:4               // permute edge values
s_waitcnt 0                                        // wait for swizzle operation
v_accvgpr_write_b32 acc56, v5                      // 
v_accvgpr_read_b32 v5, acc57                       // glvw 3 mb 1 tt1 25 r 0
s_nop 1                                            // v_accvgpr read vgpr after write vgpr: 2 wait states
ds_bpermute_b32 v5, v0, v5, offset:4               // permute edge values
s_waitcnt 0                                        // wait for swizzle operation
v_accvgpr_write_b32 acc57, v5                      // 
v_accvgpr_read_b32 v5, acc58                       // glvw 3 mb 1 tt1 26 r 0
s_nop 1                                            // v_accvgpr read vgpr after write vgpr: 2 wait states
ds_bpermute_b32 v5, v0, v5, offset:4               // permute edge values
s_waitcnt 0                                        // wait for swizzle operation
v_accvgpr_write_b32 acc58, v5                      // 
v_accvgpr_read_b32 v5, acc59                       // glvw 3 mb 1 tt1 27 r 0
s_nop 1                                            // v_accvgpr read vgpr after write vgpr: 2 wait states
ds_bpermute_b32 v5, v0, v5, offset:4               // permute edge values
s_waitcnt 0                                        // wait for swizzle operation
v_accvgpr_write_b32 acc59, v5                      // 
v_accvgpr_read_b32 v5, acc60                       // glvw 3 mb 1 tt1 28 r 0
s_nop 1                                            // v_accvgpr read vgpr after write vgpr: 2 wait states
ds_bpermute_b32 v5, v0, v5, offset:4               // permute edge values
s_waitcnt 0                                        // wait for swizzle operation
v_accvgpr_write_b32 acc60, v5                      // 
v_accvgpr_read_b32 v5, acc61                       // glvw 3 mb 1 tt1 29 r 0
s_nop 1                                            // v_accvgpr read vgpr after write vgpr: 2 wait states
ds_bpermute_b32 v5, v0, v5, offset:4               // permute edge values
s_waitcnt 0                                        // wait for swizzle operation
v_accvgpr_write_b32 acc61, v5                      // 
v_accvgpr_read_b32 v5, acc62                       // glvw 3 mb 1 tt1 30 r 0
s_nop 1                                            // v_accvgpr read vgpr after write vgpr: 2 wait states
ds_bpermute_b32 v5, v0, v5, offset:4               // permute edge values
s_waitcnt 0                                        // wait for swizzle operation
v_accvgpr_write_b32 acc62, v5                      // 
v_accvgpr_read_b32 v5, acc63                       // glvw 3 mb 1 tt1 31 r 0
s_nop 1                                            // v_accvgpr read vgpr after write vgpr: 2 wait states
ds_bpermute_b32 v5, v0, v5, offset:4               // permute edge values
s_waitcnt 0                                        // wait for swizzle operation
v_accvgpr_write_b32 acc63, v5                      // 
v_accvgpr_read_b32 v5, acc80                       // glvw 3 mb 1 tt1 32 r 0
s_nop 1                                            // v_accvgpr read vgpr after write vgpr: 2 wait states
ds_bpermute_b32 v5, v0, v5, offset:4               // permute edge values
s_waitcnt 0                                        // wait for swizzle operation
v_accvgpr_write_b32 acc80, v5                      // 
v_accvgpr_read_b32 v5, acc81                       // glvw 3 mb 1 tt1 33 r 0
s_nop 1                                            // v_accvgpr read vgpr after write vgpr: 2 wait states
ds_bpermute_b32 v5, v0, v5, offset:4               // permute edge values
s_waitcnt 0                                        // wait for swizzle operation
v_accvgpr_write_b32 acc81, v5                      // 
v_accvgpr_read_b32 v5, acc82                       // glvw 3 mb 1 tt1 34 r 0
s_nop 1                                            // v_accvgpr read vgpr after write vgpr: 2 wait states
ds_bpermute_b32 v5, v0, v5, offset:4               // permute edge values
s_waitcnt 0                                        // wait for swizzle operation
v_accvgpr_write_b32 acc82, v5                      // 
v_accvgpr_read_b32 v5, acc83                       // glvw 3 mb 1 tt1 35 r 0
s_nop 1                                            // v_accvgpr read vgpr after write vgpr: 2 wait states
ds_bpermute_b32 v5, v0, v5, offset:4               // permute edge values
s_waitcnt 0                                        // wait for swizzle operation
v_accvgpr_write_b32 acc83, v5                      // 
v_accvgpr_read_b32 v5, acc84                       // glvw 3 mb 1 tt1 36 r 0
s_nop 1                                            // v_accvgpr read vgpr after write vgpr: 2 wait states
ds_bpermute_b32 v5, v0, v5, offset:4               // permute edge values
s_waitcnt 0                                        // wait for swizzle operation
v_accvgpr_write_b32 acc84, v5                      // 
v_accvgpr_read_b32 v5, acc85                       // glvw 3 mb 1 tt1 37 r 0
s_nop 1                                            // v_accvgpr read vgpr after write vgpr: 2 wait states
ds_bpermute_b32 v5, v0, v5, offset:4               // permute edge values
s_waitcnt 0                                        // wait for swizzle operation
v_accvgpr_write_b32 acc85, v5                      // 
v_accvgpr_read_b32 v5, acc86                       // glvw 3 mb 1 tt1 38 r 0
s_nop 1                                            // v_accvgpr read vgpr after write vgpr: 2 wait states
ds_bpermute_b32 v5, v0, v5, offset:4               // permute edge values
s_waitcnt 0                                        // wait for swizzle operation
v_accvgpr_write_b32 acc86, v5                      // 
v_accvgpr_read_b32 v5, acc87                       // glvw 3 mb 1 tt1 39 r 0
s_nop 1                                            // v_accvgpr read vgpr after write vgpr: 2 wait states
ds_bpermute_b32 v5, v0, v5, offset:4               // permute edge values
s_waitcnt 0                                        // wait for swizzle operation
v_accvgpr_write_b32 acc87, v5                      // 
v_accvgpr_read_b32 v5, acc88                       // glvw 3 mb 1 tt1 40 r 0
s_nop 1                                            // v_accvgpr read vgpr after write vgpr: 2 wait states
ds_bpermute_b32 v5, v0, v5, offset:4               // permute edge values
s_waitcnt 0                                        // wait for swizzle operation
v_accvgpr_write_b32 acc88, v5                      // 
v_accvgpr_read_b32 v5, acc89                       // glvw 3 mb 1 tt1 41 r 0
s_nop 1                                            // v_accvgpr read vgpr after write vgpr: 2 wait states
ds_bpermute_b32 v5, v0, v5, offset:4               // permute edge values
s_waitcnt 0                                        // wait for swizzle operation
v_accvgpr_write_b32 acc89, v5                      // 
v_accvgpr_read_b32 v5, acc90                       // glvw 3 mb 1 tt1 42 r 0
s_nop 1                                            // v_accvgpr read vgpr after write vgpr: 2 wait states
ds_bpermute_b32 v5, v0, v5, offset:4               // permute edge values
s_waitcnt 0                                        // wait for swizzle operation
v_accvgpr_write_b32 acc90, v5                      // 
v_accvgpr_read_b32 v5, acc91                       // glvw 3 mb 1 tt1 43 r 0
s_nop 1                                            // v_accvgpr read vgpr after write vgpr: 2 wait states
ds_bpermute_b32 v5, v0, v5, offset:4               // permute edge values
s_waitcnt 0                                        // wait for swizzle operation
v_accvgpr_write_b32 acc91, v5                      // 
v_accvgpr_read_b32 v5, acc92                       // glvw 3 mb 1 tt1 44 r 0
s_nop 1                                            // v_accvgpr read vgpr after write vgpr: 2 wait states
ds_bpermute_b32 v5, v0, v5, offset:4               // permute edge values
s_waitcnt 0                                        // wait for swizzle operation
v_accvgpr_write_b32 acc92, v5                      // 
v_accvgpr_read_b32 v5, acc93                       // glvw 3 mb 1 tt1 45 r 0
s_nop 1                                            // v_accvgpr read vgpr after write vgpr: 2 wait states
ds_bpermute_b32 v5, v0, v5, offset:4               // permute edge values
s_waitcnt 0                                        // wait for swizzle operation
v_accvgpr_write_b32 acc93, v5                      // 
v_accvgpr_read_b32 v5, acc94                       // glvw 3 mb 1 tt1 46 r 0
s_nop 1                                            // v_accvgpr read vgpr after write vgpr: 2 wait states
ds_bpermute_b32 v5, v0, v5, offset:4               // permute edge values
s_waitcnt 0                                        // wait for swizzle operation
v_accvgpr_write_b32 acc94, v5                      // 
v_accvgpr_read_b32 v5, acc95                       // glvw 3 mb 1 tt1 47 r 0
s_nop 1                                            // v_accvgpr read vgpr after write vgpr: 2 wait states
ds_bpermute_b32 v5, v0, v5, offset:4               // permute edge values
s_waitcnt 0                                        // wait for swizzle operation
v_accvgpr_write_b32 acc95, v5                      // 
s_mov_b64 s[10:11], 0xFFFFFFFFFFFFFFFF             // to restore all threads active
s_or_saveexec_b64 vcc, s[10:11]                    // all threads active
s_branch label_0034                                // done shifting

label_0034: // end shift0


/* shift vector components d1 */

v_mov_b32 v1, s[sgprWorkGroup1]                    // 
v_mul_i32_i24 v1, -0xc0, v1                        // wg*MT
_v_add_co_u32 v1, vcc, s[sgprSizesFree+1], v1      // wgMT = Size - wg*MT
v_mov_b32 v2, 0xc0                                 // MT
v_min_u32 v1, v2, v1                               // wgMT = (wgMT < MT) ? wgMT : MT
v_lshrrev_b32 v0, 7, v[vgprSerial]                 // v0 = v[vgprSerial] / 128
v_and_b32 v3, 1, v0                                // v3 = v0 % 2
v_lshrrev_b32 v0, 5, v1                            // v0 = v1 / 32
v_and_b32 v4, 1, v0                                // v4 = v0 % 2
v_cmp_eq_u32 s[10:11], v4, v3                      // wave_id == block_belong_to_wave?
v_cndmask_b32 v1, v2, v1, s[10:11]                 // wgMT = (wgMT < MT) ? wgMT : MT

/* mbReg: which mb block need to shift, mb(matrixInstCoal(32) * VectorWidth(1)) */
v_lshrrev_b32 v2, 3, v1                            // v2 = v1 / 8
v_lshlrev_b32 v4, 0x2, v3                          // v4 = v3 * 4
_v_sub_u32 v2, v2, v4                              // 

/* gbReg: glvw block id */
v_lshrrev_b32 v4, 2, v1                            // v4 = v1 / 4

/* tgbReg: glvw block id */
v_lshrrev_b32 v0, 5, v[vgprSerial]                 // v0 = v[vgprSerial] / 32
v_and_b32 v5, 1, v0                                // v5 = v0 % 2
v_lshlrev_b32 v5, 0x2, v5                          // v5 = v5 * 4
v_lshrrev_b32 v5, 2, v5                            // v5 = v5 / 4
v_lshlrev_b32 v3, 0x3, v3                          // v3 = v3 * 8
_v_add_co_u32 v5, vcc, v3, v5                      // tgbReg = (tid_coal * continOut) / GLVW
_v_sub_u32 v4, v4, v5                              // 

/* vwReg: glvw in which vw block? */
v_and_b32 v3, 3, v1                                // permute register between threads
v_lshrrev_b32 v3, 2, v3                            // permute register between threads

/* rReg : reminder of M_size % GlobalLoadVectorWidth */
v_and_b32 v5, 3, v1                                // v5 = v1 % 4
v_cmp_eq_u32 vcc, v5, 0x1                          // wgMT%VW == 1
s_cbranch_vccnz label_0039                         // branch to shift d1 r=1
v_cmp_eq_u32 vcc, v5, 0x2                          // wgMT%VW == 2
s_cbranch_vccnz label_0064                         // branch to shift d1 r=2
v_cmp_eq_u32 vcc, v5, 0x3                          // wgMT%VW == 3
s_cbranch_vccnz label_0089                         // branch to shift d1 r=3
s_branch label_0114                                // no shifting

/******************************************/
/* shift d1 r=1                           */
/******************************************/
label_0039:
v_cmp_eq_u32 vcc, v2, 0x0                          // 
s_cbranch_vccnz label_0040                         // branch to shift d1 r1 mb0
v_cmp_eq_u32 vcc, v2, 0x1                          // 
s_cbranch_vccnz label_0042                         // branch to shift d1 r1 mb1
v_cmp_eq_u32 vcc, v2, 0x2                          // 
s_cbranch_vccnz label_0044                         // branch to shift d1 r1 mb2
v_cmp_eq_u32 vcc, v2, 0x3                          // 
s_cbranch_vccnz label_0046                         // branch to shift d1 r1 mb3
v_cmp_eq_u32 vcc, v2, 0x8                          // 
s_cbranch_vccnz label_0048                         // branch to shift d1 r1 mb4
v_cmp_eq_u32 vcc, v2, 0x9                          // 
s_cbranch_vccnz label_0050                         // branch to shift d1 r1 mb5
v_cmp_eq_u32 vcc, v2, 0xa                          // 
s_cbranch_vccnz label_0052                         // branch to shift d1 r1 mb6
v_cmp_eq_u32 vcc, v2, 0xb                          // 
s_cbranch_vccnz label_0054                         // branch to shift d1 r1 mb7
v_cmp_eq_u32 vcc, v2, 0x10                         // 
s_cbranch_vccnz label_0056                         // branch to shift d1 r1 mb8
v_cmp_eq_u32 vcc, v2, 0x11                         // 
s_cbranch_vccnz label_0058                         // branch to shift d1 r1 mb9
v_cmp_eq_u32 vcc, v2, 0x12                         // 
s_cbranch_vccnz label_0060                         // branch to shift d1 r1 mb10
v_cmp_eq_u32 vcc, v2, 0x13                         // 
s_cbranch_vccnz label_0062                         // branch to shift d1 r1 mb11

/******************************************/
/* shift d1 r=2                           */
/******************************************/
label_0064:
v_cmp_eq_u32 vcc, v2, 0x0                          // 
s_cbranch_vccnz label_0065                         // branch to shift d1 r2 mb0
v_cmp_eq_u32 vcc, v2, 0x1                          // 
s_cbranch_vccnz label_0067                         // branch to shift d1 r2 mb1
v_cmp_eq_u32 vcc, v2, 0x2                          // 
s_cbranch_vccnz label_0069                         // branch to shift d1 r2 mb2
v_cmp_eq_u32 vcc, v2, 0x3                          // 
s_cbranch_vccnz label_0071                         // branch to shift d1 r2 mb3
v_cmp_eq_u32 vcc, v2, 0x8                          // 
s_cbranch_vccnz label_0073                         // branch to shift d1 r2 mb4
v_cmp_eq_u32 vcc, v2, 0x9                          // 
s_cbranch_vccnz label_0075                         // branch to shift d1 r2 mb5
v_cmp_eq_u32 vcc, v2, 0xa                          // 
s_cbranch_vccnz label_0077                         // branch to shift d1 r2 mb6
v_cmp_eq_u32 vcc, v2, 0xb                          // 
s_cbranch_vccnz label_0079                         // branch to shift d1 r2 mb7
v_cmp_eq_u32 vcc, v2, 0x10                         // 
s_cbranch_vccnz label_0081                         // branch to shift d1 r2 mb8
v_cmp_eq_u32 vcc, v2, 0x11                         // 
s_cbranch_vccnz label_0083                         // branch to shift d1 r2 mb9
v_cmp_eq_u32 vcc, v2, 0x12                         // 
s_cbranch_vccnz label_0085                         // branch to shift d1 r2 mb10
v_cmp_eq_u32 vcc, v2, 0x13                         // 
s_cbranch_vccnz label_0087                         // branch to shift d1 r2 mb11

/******************************************/
/* shift d1 r=3                           */
/******************************************/
label_0089:
v_cmp_eq_u32 vcc, v2, 0x0                          // 
s_cbranch_vccnz label_0090                         // branch to shift d1 r3 mb0
v_cmp_eq_u32 vcc, v2, 0x1                          // 
s_cbranch_vccnz label_0092                         // branch to shift d1 r3 mb1
v_cmp_eq_u32 vcc, v2, 0x2                          // 
s_cbranch_vccnz label_0094                         // branch to shift d1 r3 mb2
v_cmp_eq_u32 vcc, v2, 0x3                          // 
s_cbranch_vccnz label_0096                         // branch to shift d1 r3 mb3
v_cmp_eq_u32 vcc, v2, 0x8                          // 
s_cbranch_vccnz label_0098                         // branch to shift d1 r3 mb4
v_cmp_eq_u32 vcc, v2, 0x9                          // 
s_cbranch_vccnz label_0100                         // branch to shift d1 r3 mb5
v_cmp_eq_u32 vcc, v2, 0xa                          // 
s_cbranch_vccnz label_0102                         // branch to shift d1 r3 mb6
v_cmp_eq_u32 vcc, v2, 0xb                          // 
s_cbranch_vccnz label_0104                         // branch to shift d1 r3 mb7
v_cmp_eq_u32 vcc, v2, 0x10                         // 
s_cbranch_vccnz label_0106                         // branch to shift d1 r3 mb8
v_cmp_eq_u32 vcc, v2, 0x11                         // 
s_cbranch_vccnz label_0108                         // branch to shift d1 r3 mb9
v_cmp_eq_u32 vcc, v2, 0x12                         // 
s_cbranch_vccnz label_0110                         // branch to shift d1 r3 mb10
v_cmp_eq_u32 vcc, v2, 0x13                         // 
s_cbranch_vccnz label_0112                         // branch to shift d1 r3 mb11

/******************************************/
/* shift d1 r=1 mb=0                      */
/******************************************/
label_0040: // r1 mb0 
v_cmp_eq_u32 vcc, v3, 0x0                          // 
s_cbranch_vccnz label_0041                         // branch to shift d1 r1 mb0 vw0

/******************************************/
/* shift d1 r=1 mb=1                      */
/******************************************/
label_0042: // r1 mb1 
v_cmp_eq_u32 vcc, v3, 0x0                          // 
s_cbranch_vccnz label_0043                         // branch to shift d1 r1 mb1 vw0

/******************************************/
/* shift d1 r=1 mb=2                      */
/******************************************/
label_0044: // r1 mb2 
v_cmp_eq_u32 vcc, v3, 0x0                          // 
s_cbranch_vccnz label_0045                         // branch to shift d1 r1 mb2 vw0

/******************************************/
/* shift d1 r=1 mb=3                      */
/******************************************/
label_0046: // r1 mb3 
v_cmp_eq_u32 vcc, v3, 0x0                          // 
s_cbranch_vccnz label_0047                         // branch to shift d1 r1 mb3 vw0

/******************************************/
/* shift d1 r=1 mb=4                      */
/******************************************/
label_0048: // r1 mb4 
v_cmp_eq_u32 vcc, v3, 0x0                          // 
s_cbranch_vccnz label_0049                         // branch to shift d1 r1 mb4 vw0

/******************************************/
/* shift d1 r=1 mb=5                      */
/******************************************/
label_0050: // r1 mb5 
v_cmp_eq_u32 vcc, v3, 0x0                          // 
s_cbranch_vccnz label_0051                         // branch to shift d1 r1 mb5 vw0

/******************************************/
/* shift d1 r=1 mb=6                      */
/******************************************/
label_0052: // r1 mb6 
v_cmp_eq_u32 vcc, v3, 0x0                          // 
s_cbranch_vccnz label_0053                         // branch to shift d1 r1 mb6 vw0

/******************************************/
/* shift d1 r=1 mb=7                      */
/******************************************/
label_0054: // r1 mb7 
v_cmp_eq_u32 vcc, v3, 0x0                          // 
s_cbranch_vccnz label_0055                         // branch to shift d1 r1 mb7 vw0

/******************************************/
/* shift d1 r=1 mb=8                      */
/******************************************/
label_0056: // r1 mb8 
v_cmp_eq_u32 vcc, v3, 0x0                          // 
s_cbranch_vccnz label_0057                         // branch to shift d1 r1 mb8 vw0

/******************************************/
/* shift d1 r=1 mb=9                      */
/******************************************/
label_0058: // r1 mb9 
v_cmp_eq_u32 vcc, v3, 0x0                          // 
s_cbranch_vccnz label_0059                         // branch to shift d1 r1 mb9 vw0

/******************************************/
/* shift d1 r=1 mb=10                     */
/******************************************/
label_0060: // r1 mb10 
v_cmp_eq_u32 vcc, v3, 0x0                          // 
s_cbranch_vccnz label_0061                         // branch to shift d1 r1 mb10 vw0

/******************************************/
/* shift d1 r=1 mb=11                     */
/******************************************/
label_0062: // r1 mb11 
v_cmp_eq_u32 vcc, v3, 0x0                          // 
s_cbranch_vccnz label_0063                         // branch to shift d1 r1 mb11 vw0

/******************************************/
/* shift d1 r=2 mb=0                      */
/******************************************/
label_0065: // r2 mb0 
v_cmp_eq_u32 vcc, v3, 0x0                          // 
s_cbranch_vccnz label_0066                         // branch to shift d1 r2 mb0 vw0

/******************************************/
/* shift d1 r=2 mb=1                      */
/******************************************/
label_0067: // r2 mb1 
v_cmp_eq_u32 vcc, v3, 0x0                          // 
s_cbranch_vccnz label_0068                         // branch to shift d1 r2 mb1 vw0

/******************************************/
/* shift d1 r=2 mb=2                      */
/******************************************/
label_0069: // r2 mb2 
v_cmp_eq_u32 vcc, v3, 0x0                          // 
s_cbranch_vccnz label_0070                         // branch to shift d1 r2 mb2 vw0

/******************************************/
/* shift d1 r=2 mb=3                      */
/******************************************/
label_0071: // r2 mb3 
v_cmp_eq_u32 vcc, v3, 0x0                          // 
s_cbranch_vccnz label_0072                         // branch to shift d1 r2 mb3 vw0

/******************************************/
/* shift d1 r=2 mb=4                      */
/******************************************/
label_0073: // r2 mb4 
v_cmp_eq_u32 vcc, v3, 0x0                          // 
s_cbranch_vccnz label_0074                         // branch to shift d1 r2 mb4 vw0

/******************************************/
/* shift d1 r=2 mb=5                      */
/******************************************/
label_0075: // r2 mb5 
v_cmp_eq_u32 vcc, v3, 0x0                          // 
s_cbranch_vccnz label_0076                         // branch to shift d1 r2 mb5 vw0

/******************************************/
/* shift d1 r=2 mb=6                      */
/******************************************/
label_0077: // r2 mb6 
v_cmp_eq_u32 vcc, v3, 0x0                          // 
s_cbranch_vccnz label_0078                         // branch to shift d1 r2 mb6 vw0

/******************************************/
/* shift d1 r=2 mb=7                      */
/******************************************/
label_0079: // r2 mb7 
v_cmp_eq_u32 vcc, v3, 0x0                          // 
s_cbranch_vccnz label_0080                         // branch to shift d1 r2 mb7 vw0

/******************************************/
/* shift d1 r=2 mb=8                      */
/******************************************/
label_0081: // r2 mb8 
v_cmp_eq_u32 vcc, v3, 0x0                          // 
s_cbranch_vccnz label_0082                         // branch to shift d1 r2 mb8 vw0

/******************************************/
/* shift d1 r=2 mb=9                      */
/******************************************/
label_0083: // r2 mb9 
v_cmp_eq_u32 vcc, v3, 0x0                          // 
s_cbranch_vccnz label_0084                         // branch to shift d1 r2 mb9 vw0

/******************************************/
/* shift d1 r=2 mb=10                     */
/******************************************/
label_0085: // r2 mb10 
v_cmp_eq_u32 vcc, v3, 0x0                          // 
s_cbranch_vccnz label_0086                         // branch to shift d1 r2 mb10 vw0

/******************************************/
/* shift d1 r=2 mb=11                     */
/******************************************/
label_0087: // r2 mb11 
v_cmp_eq_u32 vcc, v3, 0x0                          // 
s_cbranch_vccnz label_0088                         // branch to shift d1 r2 mb11 vw0

/******************************************/
/* shift d1 r=3 mb=0                      */
/******************************************/
label_0090: // r3 mb0 
v_cmp_eq_u32 vcc, v3, 0x0                          // 
s_cbranch_vccnz label_0091                         // branch to shift d1 r3 mb0 vw0

/******************************************/
/* shift d1 r=3 mb=1                      */
/******************************************/
label_0092: // r3 mb1 
v_cmp_eq_u32 vcc, v3, 0x0                          // 
s_cbranch_vccnz label_0093                         // branch to shift d1 r3 mb1 vw0

/******************************************/
/* shift d1 r=3 mb=2                      */
/******************************************/
label_0094: // r3 mb2 
v_cmp_eq_u32 vcc, v3, 0x0                          // 
s_cbranch_vccnz label_0095                         // branch to shift d1 r3 mb2 vw0

/******************************************/
/* shift d1 r=3 mb=3                      */
/******************************************/
label_0096: // r3 mb3 
v_cmp_eq_u32 vcc, v3, 0x0                          // 
s_cbranch_vccnz label_0097                         // branch to shift d1 r3 mb3 vw0

/******************************************/
/* shift d1 r=3 mb=4                      */
/******************************************/
label_0098: // r3 mb4 
v_cmp_eq_u32 vcc, v3, 0x0                          // 
s_cbranch_vccnz label_0099                         // branch to shift d1 r3 mb4 vw0

/******************************************/
/* shift d1 r=3 mb=5                      */
/******************************************/
label_0100: // r3 mb5 
v_cmp_eq_u32 vcc, v3, 0x0                          // 
s_cbranch_vccnz label_0101                         // branch to shift d1 r3 mb5 vw0

/******************************************/
/* shift d1 r=3 mb=6                      */
/******************************************/
label_0102: // r3 mb6 
v_cmp_eq_u32 vcc, v3, 0x0                          // 
s_cbranch_vccnz label_0103                         // branch to shift d1 r3 mb6 vw0

/******************************************/
/* shift d1 r=3 mb=7                      */
/******************************************/
label_0104: // r3 mb7 
v_cmp_eq_u32 vcc, v3, 0x0                          // 
s_cbranch_vccnz label_0105                         // branch to shift d1 r3 mb7 vw0

/******************************************/
/* shift d1 r=3 mb=8                      */
/******************************************/
label_0106: // r3 mb8 
v_cmp_eq_u32 vcc, v3, 0x0                          // 
s_cbranch_vccnz label_0107                         // branch to shift d1 r3 mb8 vw0

/******************************************/
/* shift d1 r=3 mb=9                      */
/******************************************/
label_0108: // r3 mb9 
v_cmp_eq_u32 vcc, v3, 0x0                          // 
s_cbranch_vccnz label_0109                         // branch to shift d1 r3 mb9 vw0

/******************************************/
/* shift d1 r=3 mb=10                     */
/******************************************/
label_0110: // r3 mb10 
v_cmp_eq_u32 vcc, v3, 0x0                          // 
s_cbranch_vccnz label_0111                         // branch to shift d1 r3 mb10 vw0

/******************************************/
/* shift d1 r=3 mb=11                     */
/******************************************/
label_0112: // r3 mb11 
v_cmp_eq_u32 vcc, v3, 0x0                          // 
s_cbranch_vccnz label_0113                         // branch to shift d1 r3 mb11 vw0

/******************************************/
/* shift d1 r=1 mb=0 vw0                  */
/******************************************/
label_0041: // r1 mb0 vw0 
s_mov_b32 s10, 0                                   // 
_v_cmpx_eq_u32 s[10:11], v4, s10                   // is thread in edge glvw region
v_and_b32 v0, 63, v[vgprSerial]                    // permute register between threads
v_lshlrev_b32 v0, 2, v0                            // permute register between threads
v_accvgpr_read_b32 v5, acc3                        // glvw 1 mb 0 tt1 0 r 0
s_nop 1                                            // v_accvgpr read vgpr after write vgpr: 2 wait states
v_accvgpr_write_b32 acc0, v5                       // 
v_accvgpr_read_b32 v5, acc19                       // glvw 1 mb 0 tt1 1 r 0
s_nop 1                                            // v_accvgpr read vgpr after write vgpr: 2 wait states
v_accvgpr_write_b32 acc16, v5                      // 
s_mov_b64 s[10:11], 0xFFFFFFFFFFFFFFFF             // to restore all threads active
s_or_saveexec_b64 vcc, s[10:11]                    // all threads active
s_branch label_0114                                // done shifting


/******************************************/
/* shift d1 r=1 mb=1 vw0                  */
/******************************************/
label_0043: // r1 mb1 vw0 
s_mov_b32 s10, 2                                   // 
_v_cmpx_eq_u32 s[10:11], v4, s10                   // is thread in edge glvw region
v_and_b32 v0, 63, v[vgprSerial]                    // permute register between threads
v_lshlrev_b32 v0, 2, v0                            // permute register between threads
v_accvgpr_read_b32 v5, acc7                        // glvw 1 mb 1 tt1 0 r 0
s_nop 1                                            // v_accvgpr read vgpr after write vgpr: 2 wait states
v_accvgpr_write_b32 acc4, v5                       // 
v_accvgpr_read_b32 v5, acc23                       // glvw 1 mb 1 tt1 1 r 0
s_nop 1                                            // v_accvgpr read vgpr after write vgpr: 2 wait states
v_accvgpr_write_b32 acc20, v5                      // 
s_mov_b64 s[10:11], 0xFFFFFFFFFFFFFFFF             // to restore all threads active
s_or_saveexec_b64 vcc, s[10:11]                    // all threads active
s_branch label_0114                                // done shifting


/******************************************/
/* shift d1 r=1 mb=2 vw0                  */
/******************************************/
label_0045: // r1 mb2 vw0 
s_mov_b32 s10, 4                                   // 
_v_cmpx_eq_u32 s[10:11], v4, s10                   // is thread in edge glvw region
v_and_b32 v0, 63, v[vgprSerial]                    // permute register between threads
v_lshlrev_b32 v0, 2, v0                            // permute register between threads
v_accvgpr_read_b32 v5, acc11                       // glvw 1 mb 2 tt1 0 r 0
s_nop 1                                            // v_accvgpr read vgpr after write vgpr: 2 wait states
v_accvgpr_write_b32 acc8, v5                       // 
v_accvgpr_read_b32 v5, acc27                       // glvw 1 mb 2 tt1 1 r 0
s_nop 1                                            // v_accvgpr read vgpr after write vgpr: 2 wait states
v_accvgpr_write_b32 acc24, v5                      // 
s_mov_b64 s[10:11], 0xFFFFFFFFFFFFFFFF             // to restore all threads active
s_or_saveexec_b64 vcc, s[10:11]                    // all threads active
s_branch label_0114                                // done shifting


/******************************************/
/* shift d1 r=1 mb=3 vw0                  */
/******************************************/
label_0047: // r1 mb3 vw0 
s_mov_b32 s10, 6                                   // 
_v_cmpx_eq_u32 s[10:11], v4, s10                   // is thread in edge glvw region
v_and_b32 v0, 63, v[vgprSerial]                    // permute register between threads
v_lshlrev_b32 v0, 2, v0                            // permute register between threads
v_accvgpr_read_b32 v5, acc15                       // glvw 1 mb 3 tt1 0 r 0
s_nop 1                                            // v_accvgpr read vgpr after write vgpr: 2 wait states
v_accvgpr_write_b32 acc12, v5                      // 
v_accvgpr_read_b32 v5, acc31                       // glvw 1 mb 3 tt1 1 r 0
s_nop 1                                            // v_accvgpr read vgpr after write vgpr: 2 wait states
v_accvgpr_write_b32 acc28, v5                      // 
s_mov_b64 s[10:11], 0xFFFFFFFFFFFFFFFF             // to restore all threads active
s_or_saveexec_b64 vcc, s[10:11]                    // all threads active
s_branch label_0114                                // done shifting


/******************************************/
/* shift d1 r=1 mb=4 vw0                  */
/******************************************/
label_0049: // r1 mb4 vw0 
s_mov_b32 s10, 16                                  // 
_v_cmpx_eq_u32 s[10:11], v4, s10                   // is thread in edge glvw region
v_and_b32 v0, 63, v[vgprSerial]                    // permute register between threads
v_lshlrev_b32 v0, 2, v0                            // permute register between threads
v_accvgpr_read_b32 v5, acc35                       // glvw 1 mb 4 tt1 0 r 0
s_nop 1                                            // v_accvgpr read vgpr after write vgpr: 2 wait states
v_accvgpr_write_b32 acc32, v5                      // 
v_accvgpr_read_b32 v5, acc51                       // glvw 1 mb 4 tt1 1 r 0
s_nop 1                                            // v_accvgpr read vgpr after write vgpr: 2 wait states
v_accvgpr_write_b32 acc48, v5                      // 
s_mov_b64 s[10:11], 0xFFFFFFFFFFFFFFFF             // to restore all threads active
s_or_saveexec_b64 vcc, s[10:11]                    // all threads active
s_branch label_0114                                // done shifting


/******************************************/
/* shift d1 r=1 mb=5 vw0                  */
/******************************************/
label_0051: // r1 mb5 vw0 
s_mov_b32 s10, 18                                  // 
_v_cmpx_eq_u32 s[10:11], v4, s10                   // is thread in edge glvw region
v_and_b32 v0, 63, v[vgprSerial]                    // permute register between threads
v_lshlrev_b32 v0, 2, v0                            // permute register between threads
v_accvgpr_read_b32 v5, acc39                       // glvw 1 mb 5 tt1 0 r 0
s_nop 1                                            // v_accvgpr read vgpr after write vgpr: 2 wait states
v_accvgpr_write_b32 acc36, v5                      // 
v_accvgpr_read_b32 v5, acc55                       // glvw 1 mb 5 tt1 1 r 0
s_nop 1                                            // v_accvgpr read vgpr after write vgpr: 2 wait states
v_accvgpr_write_b32 acc52, v5                      // 
s_mov_b64 s[10:11], 0xFFFFFFFFFFFFFFFF             // to restore all threads active
s_or_saveexec_b64 vcc, s[10:11]                    // all threads active
s_branch label_0114                                // done shifting


/******************************************/
/* shift d1 r=1 mb=6 vw0                  */
/******************************************/
label_0053: // r1 mb6 vw0 
s_mov_b32 s10, 20                                  // 
_v_cmpx_eq_u32 s[10:11], v4, s10                   // is thread in edge glvw region
v_and_b32 v0, 63, v[vgprSerial]                    // permute register between threads
v_lshlrev_b32 v0, 2, v0                            // permute register between threads
v_accvgpr_read_b32 v5, acc43                       // glvw 1 mb 6 tt1 0 r 0
s_nop 1                                            // v_accvgpr read vgpr after write vgpr: 2 wait states
v_accvgpr_write_b32 acc40, v5                      // 
v_accvgpr_read_b32 v5, acc59                       // glvw 1 mb 6 tt1 1 r 0
s_nop 1                                            // v_accvgpr read vgpr after write vgpr: 2 wait states
v_accvgpr_write_b32 acc56, v5                      // 
s_mov_b64 s[10:11], 0xFFFFFFFFFFFFFFFF             // to restore all threads active
s_or_saveexec_b64 vcc, s[10:11]                    // all threads active
s_branch label_0114                                // done shifting


/******************************************/
/* shift d1 r=1 mb=7 vw0                  */
/******************************************/
label_0055: // r1 mb7 vw0 
s_mov_b32 s10, 22                                  // 
_v_cmpx_eq_u32 s[10:11], v4, s10                   // is thread in edge glvw region
v_and_b32 v0, 63, v[vgprSerial]                    // permute register between threads
v_lshlrev_b32 v0, 2, v0                            // permute register between threads
v_accvgpr_read_b32 v5, acc47                       // glvw 1 mb 7 tt1 0 r 0
s_nop 1                                            // v_accvgpr read vgpr after write vgpr: 2 wait states
v_accvgpr_write_b32 acc44, v5                      // 
v_accvgpr_read_b32 v5, acc63                       // glvw 1 mb 7 tt1 1 r 0
s_nop 1                                            // v_accvgpr read vgpr after write vgpr: 2 wait states
v_accvgpr_write_b32 acc60, v5                      // 
s_mov_b64 s[10:11], 0xFFFFFFFFFFFFFFFF             // to restore all threads active
s_or_saveexec_b64 vcc, s[10:11]                    // all threads active
s_branch label_0114                                // done shifting


/******************************************/
/* shift d1 r=1 mb=8 vw0                  */
/******************************************/
label_0057: // r1 mb8 vw0 
s_mov_b32 s10, 32                                  // 
_v_cmpx_eq_u32 s[10:11], v4, s10                   // is thread in edge glvw region
v_and_b32 v0, 63, v[vgprSerial]                    // permute register between threads
v_lshlrev_b32 v0, 2, v0                            // permute register between threads
v_accvgpr_read_b32 v5, acc67                       // glvw 1 mb 8 tt1 0 r 0
s_nop 1                                            // v_accvgpr read vgpr after write vgpr: 2 wait states
v_accvgpr_write_b32 acc64, v5                      // 
v_accvgpr_read_b32 v5, acc83                       // glvw 1 mb 8 tt1 1 r 0
s_nop 1                                            // v_accvgpr read vgpr after write vgpr: 2 wait states
v_accvgpr_write_b32 acc80, v5                      // 
s_mov_b64 s[10:11], 0xFFFFFFFFFFFFFFFF             // to restore all threads active
s_or_saveexec_b64 vcc, s[10:11]                    // all threads active
s_branch label_0114                                // done shifting


/******************************************/
/* shift d1 r=1 mb=9 vw0                  */
/******************************************/
label_0059: // r1 mb9 vw0 
s_mov_b32 s10, 34                                  // 
_v_cmpx_eq_u32 s[10:11], v4, s10                   // is thread in edge glvw region
v_and_b32 v0, 63, v[vgprSerial]                    // permute register between threads
v_lshlrev_b32 v0, 2, v0                            // permute register between threads
v_accvgpr_read_b32 v5, acc71                       // glvw 1 mb 9 tt1 0 r 0
s_nop 1                                            // v_accvgpr read vgpr after write vgpr: 2 wait states
v_accvgpr_write_b32 acc68, v5                      // 
v_accvgpr_read_b32 v5, acc87                       // glvw 1 mb 9 tt1 1 r 0
s_nop 1                                            // v_accvgpr read vgpr after write vgpr: 2 wait states
v_accvgpr_write_b32 acc84, v5                      // 
s_mov_b64 s[10:11], 0xFFFFFFFFFFFFFFFF             // to restore all threads active
s_or_saveexec_b64 vcc, s[10:11]                    // all threads active
s_branch label_0114                                // done shifting


/******************************************/
/* shift d1 r=1 mb=10 vw0                 */
/******************************************/
label_0061: // r1 mb10 vw0 
s_mov_b32 s10, 36                                  // 
_v_cmpx_eq_u32 s[10:11], v4, s10                   // is thread in edge glvw region
v_and_b32 v0, 63, v[vgprSerial]                    // permute register between threads
v_lshlrev_b32 v0, 2, v0                            // permute register between threads
v_accvgpr_read_b32 v5, acc75                       // glvw 1 mb 10 tt1 0 r 0
s_nop 1                                            // v_accvgpr read vgpr after write vgpr: 2 wait states
v_accvgpr_write_b32 acc72, v5                      // 
v_accvgpr_read_b32 v5, acc91                       // glvw 1 mb 10 tt1 1 r 0
s_nop 1                                            // v_accvgpr read vgpr after write vgpr: 2 wait states
v_accvgpr_write_b32 acc88, v5                      // 
s_mov_b64 s[10:11], 0xFFFFFFFFFFFFFFFF             // to restore all threads active
s_or_saveexec_b64 vcc, s[10:11]                    // all threads active
s_branch label_0114                                // done shifting


/******************************************/
/* shift d1 r=1 mb=11 vw0                 */
/******************************************/
label_0063: // r1 mb11 vw0 
s_mov_b32 s10, 38                                  // 
_v_cmpx_eq_u32 s[10:11], v4, s10                   // is thread in edge glvw region
v_and_b32 v0, 63, v[vgprSerial]                    // permute register between threads
v_lshlrev_b32 v0, 2, v0                            // permute register between threads
v_accvgpr_read_b32 v5, acc79                       // glvw 1 mb 11 tt1 0 r 0
s_nop 1                                            // v_accvgpr read vgpr after write vgpr: 2 wait states
v_accvgpr_write_b32 acc76, v5                      // 
v_accvgpr_read_b32 v5, acc95                       // glvw 1 mb 11 tt1 1 r 0
s_nop 1                                            // v_accvgpr read vgpr after write vgpr: 2 wait states
v_accvgpr_write_b32 acc92, v5                      // 
s_mov_b64 s[10:11], 0xFFFFFFFFFFFFFFFF             // to restore all threads active
s_or_saveexec_b64 vcc, s[10:11]                    // all threads active
s_branch label_0114                                // done shifting


/******************************************/
/* shift d1 r=2 mb=0 vw0                  */
/******************************************/
label_0066: // r2 mb0 vw0 
s_mov_b32 s10, 0                                   // 
_v_cmpx_eq_u32 s[10:11], v4, s10                   // is thread in edge glvw region
v_and_b32 v0, 63, v[vgprSerial]                    // permute register between threads
v_lshlrev_b32 v0, 2, v0                            // permute register between threads
v_accvgpr_read_b32 v5, acc2                        // glvw 2 mb 0 tt1 0 r 0
v_accvgpr_read_b32 v6, acc3                        // glvw 2 mb 0 tt1 0 r 0
s_nop 1                                            // v_accvgpr read vgpr after write vgpr: 2 wait states
v_accvgpr_write_b32 acc0, v5                       // 
v_accvgpr_write_b32 acc1, v6                       // 
v_accvgpr_read_b32 v5, acc18                       // glvw 2 mb 0 tt1 1 r 0
v_accvgpr_read_b32 v6, acc19                       // glvw 2 mb 0 tt1 1 r 0
s_nop 1                                            // v_accvgpr read vgpr after write vgpr: 2 wait states
v_accvgpr_write_b32 acc16, v5                      // 
v_accvgpr_write_b32 acc17, v6                      // 
s_mov_b64 s[10:11], 0xFFFFFFFFFFFFFFFF             // to restore all threads active
s_or_saveexec_b64 vcc, s[10:11]                    // all threads active
s_branch label_0114                                // done shifting


/******************************************/
/* shift d1 r=2 mb=1 vw0                  */
/******************************************/
label_0068: // r2 mb1 vw0 
s_mov_b32 s10, 2                                   // 
_v_cmpx_eq_u32 s[10:11], v4, s10                   // is thread in edge glvw region
v_and_b32 v0, 63, v[vgprSerial]                    // permute register between threads
v_lshlrev_b32 v0, 2, v0                            // permute register between threads
v_accvgpr_read_b32 v5, acc6                        // glvw 2 mb 1 tt1 0 r 0
v_accvgpr_read_b32 v6, acc7                        // glvw 2 mb 1 tt1 0 r 0
s_nop 1                                            // v_accvgpr read vgpr after write vgpr: 2 wait states
v_accvgpr_write_b32 acc4, v5                       // 
v_accvgpr_write_b32 acc5, v6                       // 
v_accvgpr_read_b32 v5, acc22                       // glvw 2 mb 1 tt1 1 r 0
v_accvgpr_read_b32 v6, acc23                       // glvw 2 mb 1 tt1 1 r 0
s_nop 1                                            // v_accvgpr read vgpr after write vgpr: 2 wait states
v_accvgpr_write_b32 acc20, v5                      // 
v_accvgpr_write_b32 acc21, v6                      // 
s_mov_b64 s[10:11], 0xFFFFFFFFFFFFFFFF             // to restore all threads active
s_or_saveexec_b64 vcc, s[10:11]                    // all threads active
s_branch label_0114                                // done shifting


/******************************************/
/* shift d1 r=2 mb=2 vw0                  */
/******************************************/
label_0070: // r2 mb2 vw0 
s_mov_b32 s10, 4                                   // 
_v_cmpx_eq_u32 s[10:11], v4, s10                   // is thread in edge glvw region
v_and_b32 v0, 63, v[vgprSerial]                    // permute register between threads
v_lshlrev_b32 v0, 2, v0                            // permute register between threads
v_accvgpr_read_b32 v5, acc10                       // glvw 2 mb 2 tt1 0 r 0
v_accvgpr_read_b32 v6, acc11                       // glvw 2 mb 2 tt1 0 r 0
s_nop 1                                            // v_accvgpr read vgpr after write vgpr: 2 wait states
v_accvgpr_write_b32 acc8, v5                       // 
v_accvgpr_write_b32 acc9, v6                       // 
v_accvgpr_read_b32 v5, acc26                       // glvw 2 mb 2 tt1 1 r 0
v_accvgpr_read_b32 v6, acc27                       // glvw 2 mb 2 tt1 1 r 0
s_nop 1                                            // v_accvgpr read vgpr after write vgpr: 2 wait states
v_accvgpr_write_b32 acc24, v5                      // 
v_accvgpr_write_b32 acc25, v6                      // 
s_mov_b64 s[10:11], 0xFFFFFFFFFFFFFFFF             // to restore all threads active
s_or_saveexec_b64 vcc, s[10:11]                    // all threads active
s_branch label_0114                                // done shifting


/******************************************/
/* shift d1 r=2 mb=3 vw0                  */
/******************************************/
label_0072: // r2 mb3 vw0 
s_mov_b32 s10, 6                                   // 
_v_cmpx_eq_u32 s[10:11], v4, s10                   // is thread in edge glvw region
v_and_b32 v0, 63, v[vgprSerial]                    // permute register between threads
v_lshlrev_b32 v0, 2, v0                            // permute register between threads
v_accvgpr_read_b32 v5, acc14                       // glvw 2 mb 3 tt1 0 r 0
v_accvgpr_read_b32 v6, acc15                       // glvw 2 mb 3 tt1 0 r 0
s_nop 1                                            // v_accvgpr read vgpr after write vgpr: 2 wait states
v_accvgpr_write_b32 acc12, v5                      // 
v_accvgpr_write_b32 acc13, v6                      // 
v_accvgpr_read_b32 v5, acc30                       // glvw 2 mb 3 tt1 1 r 0
v_accvgpr_read_b32 v6, acc31                       // glvw 2 mb 3 tt1 1 r 0
s_nop 1                                            // v_accvgpr read vgpr after write vgpr: 2 wait states
v_accvgpr_write_b32 acc28, v5                      // 
v_accvgpr_write_b32 acc29, v6                      // 
s_mov_b64 s[10:11], 0xFFFFFFFFFFFFFFFF             // to restore all threads active
s_or_saveexec_b64 vcc, s[10:11]                    // all threads active
s_branch label_0114                                // done shifting


/******************************************/
/* shift d1 r=2 mb=4 vw0                  */
/******************************************/
label_0074: // r2 mb4 vw0 
s_mov_b32 s10, 16                                  // 
_v_cmpx_eq_u32 s[10:11], v4, s10                   // is thread in edge glvw region
v_and_b32 v0, 63, v[vgprSerial]                    // permute register between threads
v_lshlrev_b32 v0, 2, v0                            // permute register between threads
v_accvgpr_read_b32 v5, acc34                       // glvw 2 mb 4 tt1 0 r 0
v_accvgpr_read_b32 v6, acc35                       // glvw 2 mb 4 tt1 0 r 0
s_nop 1                                            // v_accvgpr read vgpr after write vgpr: 2 wait states
v_accvgpr_write_b32 acc32, v5                      // 
v_accvgpr_write_b32 acc33, v6                      // 
v_accvgpr_read_b32 v5, acc50                       // glvw 2 mb 4 tt1 1 r 0
v_accvgpr_read_b32 v6, acc51                       // glvw 2 mb 4 tt1 1 r 0
s_nop 1                                            // v_accvgpr read vgpr after write vgpr: 2 wait states
v_accvgpr_write_b32 acc48, v5                      // 
v_accvgpr_write_b32 acc49, v6                      // 
s_mov_b64 s[10:11], 0xFFFFFFFFFFFFFFFF             // to restore all threads active
s_or_saveexec_b64 vcc, s[10:11]                    // all threads active
s_branch label_0114                                // done shifting


/******************************************/
/* shift d1 r=2 mb=5 vw0                  */
/******************************************/
label_0076: // r2 mb5 vw0 
s_mov_b32 s10, 18                                  // 
_v_cmpx_eq_u32 s[10:11], v4, s10                   // is thread in edge glvw region
v_and_b32 v0, 63, v[vgprSerial]                    // permute register between threads
v_lshlrev_b32 v0, 2, v0                            // permute register between threads
v_accvgpr_read_b32 v5, acc38                       // glvw 2 mb 5 tt1 0 r 0
v_accvgpr_read_b32 v6, acc39                       // glvw 2 mb 5 tt1 0 r 0
s_nop 1                                            // v_accvgpr read vgpr after write vgpr: 2 wait states
v_accvgpr_write_b32 acc36, v5                      // 
v_accvgpr_write_b32 acc37, v6                      // 
v_accvgpr_read_b32 v5, acc54                       // glvw 2 mb 5 tt1 1 r 0
v_accvgpr_read_b32 v6, acc55                       // glvw 2 mb 5 tt1 1 r 0
s_nop 1                                            // v_accvgpr read vgpr after write vgpr: 2 wait states
v_accvgpr_write_b32 acc52, v5                      // 
v_accvgpr_write_b32 acc53, v6                      // 
s_mov_b64 s[10:11], 0xFFFFFFFFFFFFFFFF             // to restore all threads active
s_or_saveexec_b64 vcc, s[10:11]                    // all threads active
s_branch label_0114                                // done shifting


/******************************************/
/* shift d1 r=2 mb=6 vw0                  */
/******************************************/
label_0078: // r2 mb6 vw0 
s_mov_b32 s10, 20                                  // 
_v_cmpx_eq_u32 s[10:11], v4, s10                   // is thread in edge glvw region
v_and_b32 v0, 63, v[vgprSerial]                    // permute register between threads
v_lshlrev_b32 v0, 2, v0                            // permute register between threads
v_accvgpr_read_b32 v5, acc42                       // glvw 2 mb 6 tt1 0 r 0
v_accvgpr_read_b32 v6, acc43                       // glvw 2 mb 6 tt1 0 r 0
s_nop 1                                            // v_accvgpr read vgpr after write vgpr: 2 wait states
v_accvgpr_write_b32 acc40, v5                      // 
v_accvgpr_write_b32 acc41, v6                      // 
v_accvgpr_read_b32 v5, acc58                       // glvw 2 mb 6 tt1 1 r 0
v_accvgpr_read_b32 v6, acc59                       // glvw 2 mb 6 tt1 1 r 0
s_nop 1                                            // v_accvgpr read vgpr after write vgpr: 2 wait states
v_accvgpr_write_b32 acc56, v5                      // 
v_accvgpr_write_b32 acc57, v6                      // 
s_mov_b64 s[10:11], 0xFFFFFFFFFFFFFFFF             // to restore all threads active
s_or_saveexec_b64 vcc, s[10:11]                    // all threads active
s_branch label_0114                                // done shifting


/******************************************/
/* shift d1 r=2 mb=7 vw0                  */
/******************************************/
label_0080: // r2 mb7 vw0 
s_mov_b32 s10, 22                                  // 
_v_cmpx_eq_u32 s[10:11], v4, s10                   // is thread in edge glvw region
v_and_b32 v0, 63, v[vgprSerial]                    // permute register between threads
v_lshlrev_b32 v0, 2, v0                            // permute register between threads
v_accvgpr_read_b32 v5, acc46                       // glvw 2 mb 7 tt1 0 r 0
v_accvgpr_read_b32 v6, acc47                       // glvw 2 mb 7 tt1 0 r 0
s_nop 1                                            // v_accvgpr read vgpr after write vgpr: 2 wait states
v_accvgpr_write_b32 acc44, v5                      // 
v_accvgpr_write_b32 acc45, v6                      // 
v_accvgpr_read_b32 v5, acc62                       // glvw 2 mb 7 tt1 1 r 0
v_accvgpr_read_b32 v6, acc63                       // glvw 2 mb 7 tt1 1 r 0
s_nop 1                                            // v_accvgpr read vgpr after write vgpr: 2 wait states
v_accvgpr_write_b32 acc60, v5                      // 
v_accvgpr_write_b32 acc61, v6                      // 
s_mov_b64 s[10:11], 0xFFFFFFFFFFFFFFFF             // to restore all threads active
s_or_saveexec_b64 vcc, s[10:11]                    // all threads active
s_branch label_0114                                // done shifting


/******************************************/
/* shift d1 r=2 mb=8 vw0                  */
/******************************************/
label_0082: // r2 mb8 vw0 
s_mov_b32 s10, 32                                  // 
_v_cmpx_eq_u32 s[10:11], v4, s10                   // is thread in edge glvw region
v_and_b32 v0, 63, v[vgprSerial]                    // permute register between threads
v_lshlrev_b32 v0, 2, v0                            // permute register between threads
v_accvgpr_read_b32 v5, acc66                       // glvw 2 mb 8 tt1 0 r 0
v_accvgpr_read_b32 v6, acc67                       // glvw 2 mb 8 tt1 0 r 0
s_nop 1                                            // v_accvgpr read vgpr after write vgpr: 2 wait states
v_accvgpr_write_b32 acc64, v5                      // 
v_accvgpr_write_b32 acc65, v6                      // 
v_accvgpr_read_b32 v5, acc82                       // glvw 2 mb 8 tt1 1 r 0
v_accvgpr_read_b32 v6, acc83                       // glvw 2 mb 8 tt1 1 r 0
s_nop 1                                            // v_accvgpr read vgpr after write vgpr: 2 wait states
v_accvgpr_write_b32 acc80, v5                      // 
v_accvgpr_write_b32 acc81, v6                      // 
s_mov_b64 s[10:11], 0xFFFFFFFFFFFFFFFF             // to restore all threads active
s_or_saveexec_b64 vcc, s[10:11]                    // all threads active
s_branch label_0114                                // done shifting


/******************************************/
/* shift d1 r=2 mb=9 vw0                  */
/******************************************/
label_0084: // r2 mb9 vw0 
s_mov_b32 s10, 34                                  // 
_v_cmpx_eq_u32 s[10:11], v4, s10                   // is thread in edge glvw region
v_and_b32 v0, 63, v[vgprSerial]                    // permute register between threads
v_lshlrev_b32 v0, 2, v0                            // permute register between threads
v_accvgpr_read_b32 v5, acc70                       // glvw 2 mb 9 tt1 0 r 0
v_accvgpr_read_b32 v6, acc71                       // glvw 2 mb 9 tt1 0 r 0
s_nop 1                                            // v_accvgpr read vgpr after write vgpr: 2 wait states
v_accvgpr_write_b32 acc68, v5                      // 
v_accvgpr_write_b32 acc69, v6                      // 
v_accvgpr_read_b32 v5, acc86                       // glvw 2 mb 9 tt1 1 r 0
v_accvgpr_read_b32 v6, acc87                       // glvw 2 mb 9 tt1 1 r 0
s_nop 1                                            // v_accvgpr read vgpr after write vgpr: 2 wait states
v_accvgpr_write_b32 acc84, v5                      // 
v_accvgpr_write_b32 acc85, v6                      // 
s_mov_b64 s[10:11], 0xFFFFFFFFFFFFFFFF             // to restore all threads active
s_or_saveexec_b64 vcc, s[10:11]                    // all threads active
s_branch label_0114                                // done shifting


/******************************************/
/* shift d1 r=2 mb=10 vw0                 */
/******************************************/
label_0086: // r2 mb10 vw0 
s_mov_b32 s10, 36                                  // 
_v_cmpx_eq_u32 s[10:11], v4, s10                   // is thread in edge glvw region
v_and_b32 v0, 63, v[vgprSerial]                    // permute register between threads
v_lshlrev_b32 v0, 2, v0                            // permute register between threads
v_accvgpr_read_b32 v5, acc74                       // glvw 2 mb 10 tt1 0 r 0
v_accvgpr_read_b32 v6, acc75                       // glvw 2 mb 10 tt1 0 r 0
s_nop 1                                            // v_accvgpr read vgpr after write vgpr: 2 wait states
v_accvgpr_write_b32 acc72, v5                      // 
v_accvgpr_write_b32 acc73, v6                      // 
v_accvgpr_read_b32 v5, acc90                       // glvw 2 mb 10 tt1 1 r 0
v_accvgpr_read_b32 v6, acc91                       // glvw 2 mb 10 tt1 1 r 0
s_nop 1                                            // v_accvgpr read vgpr after write vgpr: 2 wait states
v_accvgpr_write_b32 acc88, v5                      // 
v_accvgpr_write_b32 acc89, v6                      // 
s_mov_b64 s[10:11], 0xFFFFFFFFFFFFFFFF             // to restore all threads active
s_or_saveexec_b64 vcc, s[10:11]                    // all threads active
s_branch label_0114                                // done shifting


/******************************************/
/* shift d1 r=2 mb=11 vw0                 */
/******************************************/
label_0088: // r2 mb11 vw0 
s_mov_b32 s10, 38                                  // 
_v_cmpx_eq_u32 s[10:11], v4, s10                   // is thread in edge glvw region
v_and_b32 v0, 63, v[vgprSerial]                    // permute register between threads
v_lshlrev_b32 v0, 2, v0                            // permute register between threads
v_accvgpr_read_b32 v5, acc78                       // glvw 2 mb 11 tt1 0 r 0
v_accvgpr_read_b32 v6, acc79                       // glvw 2 mb 11 tt1 0 r 0
s_nop 1                                            // v_accvgpr read vgpr after write vgpr: 2 wait states
v_accvgpr_write_b32 acc76, v5                      // 
v_accvgpr_write_b32 acc77, v6                      // 
v_accvgpr_read_b32 v5, acc94                       // glvw 2 mb 11 tt1 1 r 0
v_accvgpr_read_b32 v6, acc95                       // glvw 2 mb 11 tt1 1 r 0
s_nop 1                                            // v_accvgpr read vgpr after write vgpr: 2 wait states
v_accvgpr_write_b32 acc92, v5                      // 
v_accvgpr_write_b32 acc93, v6                      // 
s_mov_b64 s[10:11], 0xFFFFFFFFFFFFFFFF             // to restore all threads active
s_or_saveexec_b64 vcc, s[10:11]                    // all threads active
s_branch label_0114                                // done shifting


/******************************************/
/* shift d1 r=3 mb=0 vw0                  */
/******************************************/
label_0091: // r3 mb0 vw0 
s_mov_b32 s10, 0                                   // 
_v_cmpx_eq_u32 s[10:11], v4, s10                   // is thread in edge glvw region
v_and_b32 v0, 63, v[vgprSerial]                    // permute register between threads
v_lshlrev_b32 v0, 2, v0                            // permute register between threads
v_accvgpr_read_b32 v5, acc1                        // glvw 3 mb 0 tt1 0 r 0
v_accvgpr_read_b32 v6, acc2                        // glvw 3 mb 0 tt1 0 r 0
v_accvgpr_read_b32 v7, acc3                        // glvw 3 mb 0 tt1 0 r 0
s_nop 1                                            // v_accvgpr read vgpr after write vgpr: 2 wait states
v_accvgpr_write_b32 acc0, v5                       // 
v_accvgpr_write_b32 acc1, v6                       // 
v_accvgpr_write_b32 acc2, v7                       // 
v_accvgpr_read_b32 v5, acc17                       // glvw 3 mb 0 tt1 1 r 0
v_accvgpr_read_b32 v6, acc18                       // glvw 3 mb 0 tt1 1 r 0
v_accvgpr_read_b32 v7, acc19                       // glvw 3 mb 0 tt1 1 r 0
s_nop 1                                            // v_accvgpr read vgpr after write vgpr: 2 wait states
v_accvgpr_write_b32 acc16, v5                      // 
v_accvgpr_write_b32 acc17, v6                      // 
v_accvgpr_write_b32 acc18, v7                      // 
s_mov_b64 s[10:11], 0xFFFFFFFFFFFFFFFF             // to restore all threads active
s_or_saveexec_b64 vcc, s[10:11]                    // all threads active
s_branch label_0114                                // done shifting


/******************************************/
/* shift d1 r=3 mb=1 vw0                  */
/******************************************/
label_0093: // r3 mb1 vw0 
s_mov_b32 s10, 2                                   // 
_v_cmpx_eq_u32 s[10:11], v4, s10                   // is thread in edge glvw region
v_and_b32 v0, 63, v[vgprSerial]                    // permute register between threads
v_lshlrev_b32 v0, 2, v0                            // permute register between threads
v_accvgpr_read_b32 v5, acc5                        // glvw 3 mb 1 tt1 0 r 0
v_accvgpr_read_b32 v6, acc6                        // glvw 3 mb 1 tt1 0 r 0
v_accvgpr_read_b32 v7, acc7                        // glvw 3 mb 1 tt1 0 r 0
s_nop 1                                            // v_accvgpr read vgpr after write vgpr: 2 wait states
v_accvgpr_write_b32 acc4, v5                       // 
v_accvgpr_write_b32 acc5, v6                       // 
v_accvgpr_write_b32 acc6, v7                       // 
v_accvgpr_read_b32 v5, acc21                       // glvw 3 mb 1 tt1 1 r 0
v_accvgpr_read_b32 v6, acc22                       // glvw 3 mb 1 tt1 1 r 0
v_accvgpr_read_b32 v7, acc23                       // glvw 3 mb 1 tt1 1 r 0
s_nop 1                                            // v_accvgpr read vgpr after write vgpr: 2 wait states
v_accvgpr_write_b32 acc20, v5                      // 
v_accvgpr_write_b32 acc21, v6                      // 
v_accvgpr_write_b32 acc22, v7                      // 
s_mov_b64 s[10:11], 0xFFFFFFFFFFFFFFFF             // to restore all threads active
s_or_saveexec_b64 vcc, s[10:11]                    // all threads active
s_branch label_0114                                // done shifting


/******************************************/
/* shift d1 r=3 mb=2 vw0                  */
/******************************************/
label_0095: // r3 mb2 vw0 
s_mov_b32 s10, 4                                   // 
_v_cmpx_eq_u32 s[10:11], v4, s10                   // is thread in edge glvw region
v_and_b32 v0, 63, v[vgprSerial]                    // permute register between threads
v_lshlrev_b32 v0, 2, v0                            // permute register between threads
v_accvgpr_read_b32 v5, acc9                        // glvw 3 mb 2 tt1 0 r 0
v_accvgpr_read_b32 v6, acc10                       // glvw 3 mb 2 tt1 0 r 0
v_accvgpr_read_b32 v7, acc11                       // glvw 3 mb 2 tt1 0 r 0
s_nop 1                                            // v_accvgpr read vgpr after write vgpr: 2 wait states
v_accvgpr_write_b32 acc8, v5                       // 
v_accvgpr_write_b32 acc9, v6                       // 
v_accvgpr_write_b32 acc10, v7                      // 
v_accvgpr_read_b32 v5, acc25                       // glvw 3 mb 2 tt1 1 r 0
v_accvgpr_read_b32 v6, acc26                       // glvw 3 mb 2 tt1 1 r 0
v_accvgpr_read_b32 v7, acc27                       // glvw 3 mb 2 tt1 1 r 0
s_nop 1                                            // v_accvgpr read vgpr after write vgpr: 2 wait states
v_accvgpr_write_b32 acc24, v5                      // 
v_accvgpr_write_b32 acc25, v6                      // 
v_accvgpr_write_b32 acc26, v7                      // 
s_mov_b64 s[10:11], 0xFFFFFFFFFFFFFFFF             // to restore all threads active
s_or_saveexec_b64 vcc, s[10:11]                    // all threads active
s_branch label_0114                                // done shifting


/******************************************/
/* shift d1 r=3 mb=3 vw0                  */
/******************************************/
label_0097: // r3 mb3 vw0 
s_mov_b32 s10, 6                                   // 
_v_cmpx_eq_u32 s[10:11], v4, s10                   // is thread in edge glvw region
v_and_b32 v0, 63, v[vgprSerial]                    // permute register between threads
v_lshlrev_b32 v0, 2, v0                            // permute register between threads
v_accvgpr_read_b32 v5, acc13                       // glvw 3 mb 3 tt1 0 r 0
v_accvgpr_read_b32 v6, acc14                       // glvw 3 mb 3 tt1 0 r 0
v_accvgpr_read_b32 v7, acc15                       // glvw 3 mb 3 tt1 0 r 0
s_nop 1                                            // v_accvgpr read vgpr after write vgpr: 2 wait states
v_accvgpr_write_b32 acc12, v5                      // 
v_accvgpr_write_b32 acc13, v6                      // 
v_accvgpr_write_b32 acc14, v7                      // 
v_accvgpr_read_b32 v5, acc29                       // glvw 3 mb 3 tt1 1 r 0
v_accvgpr_read_b32 v6, acc30                       // glvw 3 mb 3 tt1 1 r 0
v_accvgpr_read_b32 v7, acc31                       // glvw 3 mb 3 tt1 1 r 0
s_nop 1                                            // v_accvgpr read vgpr after write vgpr: 2 wait states
v_accvgpr_write_b32 acc28, v5                      // 
v_accvgpr_write_b32 acc29, v6                      // 
v_accvgpr_write_b32 acc30, v7                      // 
s_mov_b64 s[10:11], 0xFFFFFFFFFFFFFFFF             // to restore all threads active
s_or_saveexec_b64 vcc, s[10:11]                    // all threads active
s_branch label_0114                                // done shifting


/******************************************/
/* shift d1 r=3 mb=4 vw0                  */
/******************************************/
label_0099: // r3 mb4 vw0 
s_mov_b32 s10, 16                                  // 
_v_cmpx_eq_u32 s[10:11], v4, s10                   // is thread in edge glvw region
v_and_b32 v0, 63, v[vgprSerial]                    // permute register between threads
v_lshlrev_b32 v0, 2, v0                            // permute register between threads
v_accvgpr_read_b32 v5, acc33                       // glvw 3 mb 4 tt1 0 r 0
v_accvgpr_read_b32 v6, acc34                       // glvw 3 mb 4 tt1 0 r 0
v_accvgpr_read_b32 v7, acc35                       // glvw 3 mb 4 tt1 0 r 0
s_nop 1                                            // v_accvgpr read vgpr after write vgpr: 2 wait states
v_accvgpr_write_b32 acc32, v5                      // 
v_accvgpr_write_b32 acc33, v6                      // 
v_accvgpr_write_b32 acc34, v7                      // 
v_accvgpr_read_b32 v5, acc49                       // glvw 3 mb 4 tt1 1 r 0
v_accvgpr_read_b32 v6, acc50                       // glvw 3 mb 4 tt1 1 r 0
v_accvgpr_read_b32 v7, acc51                       // glvw 3 mb 4 tt1 1 r 0
s_nop 1                                            // v_accvgpr read vgpr after write vgpr: 2 wait states
v_accvgpr_write_b32 acc48, v5                      // 
v_accvgpr_write_b32 acc49, v6                      // 
v_accvgpr_write_b32 acc50, v7                      // 
s_mov_b64 s[10:11], 0xFFFFFFFFFFFFFFFF             // to restore all threads active
s_or_saveexec_b64 vcc, s[10:11]                    // all threads active
s_branch label_0114                                // done shifting


/******************************************/
/* shift d1 r=3 mb=5 vw0                  */
/******************************************/
label_0101: // r3 mb5 vw0 
s_mov_b32 s10, 18                                  // 
_v_cmpx_eq_u32 s[10:11], v4, s10                   // is thread in edge glvw region
v_and_b32 v0, 63, v[vgprSerial]                    // permute register between threads
v_lshlrev_b32 v0, 2, v0                            // permute register between threads
v_accvgpr_read_b32 v5, acc37                       // glvw 3 mb 5 tt1 0 r 0
v_accvgpr_read_b32 v6, acc38                       // glvw 3 mb 5 tt1 0 r 0
v_accvgpr_read_b32 v7, acc39                       // glvw 3 mb 5 tt1 0 r 0
s_nop 1                                            // v_accvgpr read vgpr after write vgpr: 2 wait states
v_accvgpr_write_b32 acc36, v5                      // 
v_accvgpr_write_b32 acc37, v6                      // 
v_accvgpr_write_b32 acc38, v7                      // 
v_accvgpr_read_b32 v5, acc53                       // glvw 3 mb 5 tt1 1 r 0
v_accvgpr_read_b32 v6, acc54                       // glvw 3 mb 5 tt1 1 r 0
v_accvgpr_read_b32 v7, acc55                       // glvw 3 mb 5 tt1 1 r 0
s_nop 1                                            // v_accvgpr read vgpr after write vgpr: 2 wait states
v_accvgpr_write_b32 acc52, v5                      // 
v_accvgpr_write_b32 acc53, v6                      // 
v_accvgpr_write_b32 acc54, v7                      // 
s_mov_b64 s[10:11], 0xFFFFFFFFFFFFFFFF             // to restore all threads active
s_or_saveexec_b64 vcc, s[10:11]                    // all threads active
s_branch label_0114                                // done shifting


/******************************************/
/* shift d1 r=3 mb=6 vw0                  */
/******************************************/
label_0103: // r3 mb6 vw0 
s_mov_b32 s10, 20                                  // 
_v_cmpx_eq_u32 s[10:11], v4, s10                   // is thread in edge glvw region
v_and_b32 v0, 63, v[vgprSerial]                    // permute register between threads
v_lshlrev_b32 v0, 2, v0                            // permute register between threads
v_accvgpr_read_b32 v5, acc41                       // glvw 3 mb 6 tt1 0 r 0
v_accvgpr_read_b32 v6, acc42                       // glvw 3 mb 6 tt1 0 r 0
v_accvgpr_read_b32 v7, acc43                       // glvw 3 mb 6 tt1 0 r 0
s_nop 1                                            // v_accvgpr read vgpr after write vgpr: 2 wait states
v_accvgpr_write_b32 acc40, v5                      // 
v_accvgpr_write_b32 acc41, v6                      // 
v_accvgpr_write_b32 acc42, v7                      // 
v_accvgpr_read_b32 v5, acc57                       // glvw 3 mb 6 tt1 1 r 0
v_accvgpr_read_b32 v6, acc58                       // glvw 3 mb 6 tt1 1 r 0
v_accvgpr_read_b32 v7, acc59                       // glvw 3 mb 6 tt1 1 r 0
s_nop 1                                            // v_accvgpr read vgpr after write vgpr: 2 wait states
v_accvgpr_write_b32 acc56, v5                      // 
v_accvgpr_write_b32 acc57, v6                      // 
v_accvgpr_write_b32 acc58, v7                      // 
s_mov_b64 s[10:11], 0xFFFFFFFFFFFFFFFF             // to restore all threads active
s_or_saveexec_b64 vcc, s[10:11]                    // all threads active
s_branch label_0114                                // done shifting


/******************************************/
/* shift d1 r=3 mb=7 vw0                  */
/******************************************/
label_0105: // r3 mb7 vw0 
s_mov_b32 s10, 22                                  // 
_v_cmpx_eq_u32 s[10:11], v4, s10                   // is thread in edge glvw region
v_and_b32 v0, 63, v[vgprSerial]                    // permute register between threads
v_lshlrev_b32 v0, 2, v0                            // permute register between threads
v_accvgpr_read_b32 v5, acc45                       // glvw 3 mb 7 tt1 0 r 0
v_accvgpr_read_b32 v6, acc46                       // glvw 3 mb 7 tt1 0 r 0
v_accvgpr_read_b32 v7, acc47                       // glvw 3 mb 7 tt1 0 r 0
s_nop 1                                            // v_accvgpr read vgpr after write vgpr: 2 wait states
v_accvgpr_write_b32 acc44, v5                      // 
v_accvgpr_write_b32 acc45, v6                      // 
v_accvgpr_write_b32 acc46, v7                      // 
v_accvgpr_read_b32 v5, acc61                       // glvw 3 mb 7 tt1 1 r 0
v_accvgpr_read_b32 v6, acc62                       // glvw 3 mb 7 tt1 1 r 0
v_accvgpr_read_b32 v7, acc63                       // glvw 3 mb 7 tt1 1 r 0
s_nop 1                                            // v_accvgpr read vgpr after write vgpr: 2 wait states
v_accvgpr_write_b32 acc60, v5                      // 
v_accvgpr_write_b32 acc61, v6                      // 
v_accvgpr_write_b32 acc62, v7                      // 
s_mov_b64 s[10:11], 0xFFFFFFFFFFFFFFFF             // to restore all threads active
s_or_saveexec_b64 vcc, s[10:11]                    // all threads active
s_branch label_0114                                // done shifting


/******************************************/
/* shift d1 r=3 mb=8 vw0                  */
/******************************************/
label_0107: // r3 mb8 vw0 
s_mov_b32 s10, 32                                  // 
_v_cmpx_eq_u32 s[10:11], v4, s10                   // is thread in edge glvw region
v_and_b32 v0, 63, v[vgprSerial]                    // permute register between threads
v_lshlrev_b32 v0, 2, v0                            // permute register between threads
v_accvgpr_read_b32 v5, acc65                       // glvw 3 mb 8 tt1 0 r 0
v_accvgpr_read_b32 v6, acc66                       // glvw 3 mb 8 tt1 0 r 0
v_accvgpr_read_b32 v7, acc67                       // glvw 3 mb 8 tt1 0 r 0
s_nop 1                                            // v_accvgpr read vgpr after write vgpr: 2 wait states
v_accvgpr_write_b32 acc64, v5                      // 
v_accvgpr_write_b32 acc65, v6                      // 
v_accvgpr_write_b32 acc66, v7                      // 
v_accvgpr_read_b32 v5, acc81                       // glvw 3 mb 8 tt1 1 r 0
v_accvgpr_read_b32 v6, acc82                       // glvw 3 mb 8 tt1 1 r 0
v_accvgpr_read_b32 v7, acc83                       // glvw 3 mb 8 tt1 1 r 0
s_nop 1                                            // v_accvgpr read vgpr after write vgpr: 2 wait states
v_accvgpr_write_b32 acc80, v5                      // 
v_accvgpr_write_b32 acc81, v6                      // 
v_accvgpr_write_b32 acc82, v7                      // 
s_mov_b64 s[10:11], 0xFFFFFFFFFFFFFFFF             // to restore all threads active
s_or_saveexec_b64 vcc, s[10:11]                    // all threads active
s_branch label_0114                                // done shifting


/******************************************/
/* shift d1 r=3 mb=9 vw0                  */
/******************************************/
label_0109: // r3 mb9 vw0 
s_mov_b32 s10, 34                                  // 
_v_cmpx_eq_u32 s[10:11], v4, s10                   // is thread in edge glvw region
v_and_b32 v0, 63, v[vgprSerial]                    // permute register between threads
v_lshlrev_b32 v0, 2, v0                            // permute register between threads
v_accvgpr_read_b32 v5, acc69                       // glvw 3 mb 9 tt1 0 r 0
v_accvgpr_read_b32 v6, acc70                       // glvw 3 mb 9 tt1 0 r 0
v_accvgpr_read_b32 v7, acc71                       // glvw 3 mb 9 tt1 0 r 0
s_nop 1                                            // v_accvgpr read vgpr after write vgpr: 2 wait states
v_accvgpr_write_b32 acc68, v5                      // 
v_accvgpr_write_b32 acc69, v6                      // 
v_accvgpr_write_b32 acc70, v7                      // 
v_accvgpr_read_b32 v5, acc85                       // glvw 3 mb 9 tt1 1 r 0
v_accvgpr_read_b32 v6, acc86                       // glvw 3 mb 9 tt1 1 r 0
v_accvgpr_read_b32 v7, acc87                       // glvw 3 mb 9 tt1 1 r 0
s_nop 1                                            // v_accvgpr read vgpr after write vgpr: 2 wait states
v_accvgpr_write_b32 acc84, v5                      // 
v_accvgpr_write_b32 acc85, v6                      // 
v_accvgpr_write_b32 acc86, v7                      // 
s_mov_b64 s[10:11], 0xFFFFFFFFFFFFFFFF             // to restore all threads active
s_or_saveexec_b64 vcc, s[10:11]                    // all threads active
s_branch label_0114                                // done shifting


/******************************************/
/* shift d1 r=3 mb=10 vw0                 */
/******************************************/
label_0111: // r3 mb10 vw0 
s_mov_b32 s10, 36                                  // 
_v_cmpx_eq_u32 s[10:11], v4, s10                   // is thread in edge glvw region
v_and_b32 v0, 63, v[vgprSerial]                    // permute register between threads
v_lshlrev_b32 v0, 2, v0                            // permute register between threads
v_accvgpr_read_b32 v5, acc73                       // glvw 3 mb 10 tt1 0 r 0
v_accvgpr_read_b32 v6, acc74                       // glvw 3 mb 10 tt1 0 r 0
v_accvgpr_read_b32 v7, acc75                       // glvw 3 mb 10 tt1 0 r 0
s_nop 1                                            // v_accvgpr read vgpr after write vgpr: 2 wait states
v_accvgpr_write_b32 acc72, v5                      // 
v_accvgpr_write_b32 acc73, v6                      // 
v_accvgpr_write_b32 acc74, v7                      // 
v_accvgpr_read_b32 v5, acc89                       // glvw 3 mb 10 tt1 1 r 0
v_accvgpr_read_b32 v6, acc90                       // glvw 3 mb 10 tt1 1 r 0
v_accvgpr_read_b32 v7, acc91                       // glvw 3 mb 10 tt1 1 r 0
s_nop 1                                            // v_accvgpr read vgpr after write vgpr: 2 wait states
v_accvgpr_write_b32 acc88, v5                      // 
v_accvgpr_write_b32 acc89, v6                      // 
v_accvgpr_write_b32 acc90, v7                      // 
s_mov_b64 s[10:11], 0xFFFFFFFFFFFFFFFF             // to restore all threads active
s_or_saveexec_b64 vcc, s[10:11]                    // all threads active
s_branch label_0114                                // done shifting


/******************************************/
/* shift d1 r=3 mb=11 vw0                 */
/******************************************/
label_0113: // r3 mb11 vw0 
s_mov_b32 s10, 38                                  // 
_v_cmpx_eq_u32 s[10:11], v4, s10                   // is thread in edge glvw region
v_and_b32 v0, 63, v[vgprSerial]                    // permute register between threads
v_lshlrev_b32 v0, 2, v0                            // permute register between threads
v_accvgpr_read_b32 v5, acc77                       // glvw 3 mb 11 tt1 0 r 0
v_accvgpr_read_b32 v6, acc78                       // glvw 3 mb 11 tt1 0 r 0
v_accvgpr_read_b32 v7, acc79                       // glvw 3 mb 11 tt1 0 r 0
s_nop 1                                            // v_accvgpr read vgpr after write vgpr: 2 wait states
v_accvgpr_write_b32 acc76, v5                      // 
v_accvgpr_write_b32 acc77, v6                      // 
v_accvgpr_write_b32 acc78, v7                      // 
v_accvgpr_read_b32 v5, acc93                       // glvw 3 mb 11 tt1 1 r 0
v_accvgpr_read_b32 v6, acc94                       // glvw 3 mb 11 tt1 1 r 0
v_accvgpr_read_b32 v7, acc95                       // glvw 3 mb 11 tt1 1 r 0
s_nop 1                                            // v_accvgpr read vgpr after write vgpr: 2 wait states
v_accvgpr_write_b32 acc92, v5                      // 
v_accvgpr_write_b32 acc93, v6                      // 
v_accvgpr_write_b32 acc94, v7                      // 
s_mov_b64 s[10:11], 0xFFFFFFFFFFFFFFFF             // to restore all threads active
s_or_saveexec_b64 vcc, s[10:11]                    // all threads active
s_branch label_0114                                // done shifting

label_0114: // end shift0


	;; [unrolled: 1-line block ×3, first 2 shown]
/* not-LocalSplitU: global write indices */

/* computeStoreVgprs */
v_lshrrev_b32 v4, 6, v[vgprSerial]                 // v4 = v[vgprSerial] / 64
v_and_b32 v1, 63, v[vgprSerial]                    // v1 = v[vgprSerial] % 64
v_lshrrev_b32 v1, 5, v1                            // v1 = v1 / 32
v_lshlrev_b32 v1, 0x2, v1                          // thread0 * continuous_output
v_lshrrev_b32 v5, 1, v4                            // v5 = v4 / 2
v_mul_lo_u32 v5, 0x20, v5                          // wave coordination offset 1
_v_add_lshl_u32 v1, v5, v1, 0                      // coordination 1 = vwb *(wave_id1 + tid1)
v_mul_lo_u32 v2, v1, s[sgprStrideC1J]              //  offset 1
v_mul_lo_u32 v3, v1, s[sgprStrideD1J]              //  offset 1
v_and_b32 v5, 1, v4                                // v5 = v4 % 2
v_mul_lo_u32 v5, 0x20, v5                          // wave coordination offset 0
v_and_b32 v0, 31, v[vgprSerial]                    // v0 = v[vgprSerial] % 32
_v_add_lshl_u32 v0, v5, v0, 0                      // coordination 0 = vwa *(wave_id0 + tid0)
s_mul_i32 s10, 128, s[sgprWorkGroup0]              // wgp0 * MT0
_v_add_u32 v0, s10, v0                             // coord 0 = (tid0/MI_m)*4 + waveG0*MIB_m + MT0*SG0
s_mul_i32 s10, 192, s[sgprWorkGroup1]              // wgp1 * MT1
_v_add_u32 v1, s10, v1                             // coord 1 = (tid0%MI_m) + waveG1*MIB_n + MT1*SG1


/* not-LocalSplitU: global write */

s_and_b32 s56, 127, s[sgprSizeI]                   // s56 = s[sgprSizeI] % 128
s_add_u32 s57, -0x1, s[sgprNumWorkGroups0]         // 
s_cmp_ge_u32 s[sgprWorkGroup0], s57                // wg0 >= nwg0-1 ?
s_cselect_b32 s56, s56, 0                          // set rMT0
s_cmpk_gt_u32 s56, 0x0                             // rMT0 > 0
s_cbranch_scc1 GW_B0_E1_144                        // jump if edges required
s_mov_b32 s59, 0x0                                 // STATIC_DIV: divisior=192
s_mul_i32 s58, 0x2aa, s[sgprSizeJ]                 // tmp1 = dividend * magic hi
s_lshl_b64 s[58:59], s[58:59], 0x10                // left shift 16 bits
s_mul_i32 s57, s[sgprSizeJ], 0xaaab                // tmp0 = dividend * magic lo
s_add_u32 s58, s57, s58                            // add lo
s_addc_u32 s59, s59, 0x0                           // add hi
s_lshr_b64 s[58:59], s[58:59], 0x21                // tmp1 = (dividend * magic) << shift
s_mov_b32 s57, s58                                 // quotient
s_mul_i32 s58, s57, 0xc0                           // quotient*divisor
s_sub_u32 s56, s[sgprSizeJ], s58                   // rReg = dividend - quotient*divisor
s_add_u32 s57, -0x1, s[sgprNumWorkGroups1]         // 
s_cmp_ge_u32 s[sgprWorkGroup1], s57                // wg1 >= nwg1-1
s_cselect_b32 s56, s56, 0                          // set rMT1
s_cmpk_gt_u32 s56, 0x0                             // rMT1 > 0
s_cbranch_scc1 GW_B0_E1_144                        // jump if edges required
GW_B0_E0_141:

/* edge=0, allocate 2 sgpr. perBatchTmpS=2 perBatchMaskS=0 perElementMaskS=0 elementsPerBatch=242 */
/* optSingleColVgpr=1 optSharedColVgpr=0 optSGPRUsage=BufferLoad_Mask optSrdIncForRow=1 */

/******************************************/
/* Global Write Alpha Batch #0 (d1,d0,vc1,vc0) = */
/*    (0,0,0,0:vw1); (0,1,0,0:vw1); (0,0,1,0:vw1); (0,1,1,0:vw1); (0,0,2,0:vw1); (0,1,2,0:vw1); (0,0,3,0:vw1); (0,1,3,0:vw1); (1,0,0,0:vw1); (1,1,0,0:vw1); (1,0,1,0:vw1); (1,1,1,0:vw1); (1,0,2,0:vw1); (1,1,2,0:vw1); (1,0,3,0:vw1); (1,1,3,0:vw1); (2,0,0,0:vw1); (2,1,0,0:vw1); (2,0,1,0:vw1); (2,1,1,0:vw1); (2,0,2,0:vw1); (2,1,2,0:vw1); (2,0,3,0:vw1); (2,1,3,0:vw1); (3,0,0,0:vw1); (3,1,0,0:vw1); (3,0,1,0:vw1); (3,1,1,0:vw1); (3,0,2,0:vw1); (3,1,2,0:vw1); (3,0,3,0:vw1); (3,1,3,0:vw1); (4,0,0,0:vw1); (4,1,0,0:vw1); (4,0,1,0:vw1); (4,1,1,0:vw1); (4,0,2,0:vw1); (4,1,2,0:vw1); (4,0,3,0:vw1); (4,1,3,0:vw1); (5,0,0,0:vw1); (5,1,0,0:vw1); (5,0,1,0:vw1); (5,1,1,0:vw1); (5,0,2,0:vw1); (5,1,2,0:vw1); (5,0,3,0:vw1); (5,1,3,0:vw1); (6,0,0,0:vw1); (6,1,0,0:vw1); (6,0,1,0:vw1); (6,1,1,0:vw1); (6,0,2,0:vw1); (6,1,2,0:vw1); (6,0,3,0:vw1); (6,1,3,0:vw1); (7,0,0,0:vw1); (7,1,0,0:vw1); (7,0,1,0:vw1); (7,1,1,0:vw1); (7,0,2,0:vw1); (7,1,2,0:vw1); (7,0,3,0:vw1); (7,1,3,0:vw1); (8,0,0,0:vw1); (8,1,0,0:vw1); (8,0,1,0:vw1); (8,1,1,0:vw1); (8,0,2,0:vw1); (8,1,2,0:vw1); (8,0,3,0:vw1); (8,1,3,0:vw1); (9,0,0,0:vw1); (9,1,0,0:vw1); (9,0,1,0:vw1); (9,1,1,0:vw1); (9,0,2,0:vw1); (9,1,2,0:vw1); (9,0,3,0:vw1); (9,1,3,0:vw1); (10,0,0,0:vw1); (10,1,0,0:vw1); (10,0,1,0:vw1); (10,1,1,0:vw1); (10,0,2,0:vw1); (10,1,2,0:vw1); (10,0,3,0:vw1); (10,1,3,0:vw1); (11,0,0,0:vw1); (11,1,0,0:vw1); (11,0,1,0:vw1); (11,1,1,0:vw1); (11,0,2,0:vw1); (11,1,2,0:vw1); (11,0,3,0:vw1); (11,1,3,0:vw1) */
/******************************************/

/* calc coords, apply mask, and issue loads (if necessary) */
/* (d1,vc1,d0,vc0)=(0,0,0,0) */
/* (d1,vc1,d0,vc0)=(0,0,1,0) */
	;; [unrolled: 1-line block ×96, first 2 shown]
_v_add_lshl_u32 v6, v3, v0, 0x2                    // optSingleColVgpr scaleToBpe: sharedAddrVgpr <- cinRowPtr + coord0, scaled by BPE. BSHERE:coord0=0, coord0Vgpr=0
v_accvgpr_read_b32 v[vgprValuC+8], acc0 // copy acc to vreg[0]
v_accvgpr_read_b32 v[vgprValuC+9], acc16 // copy acc to vreg[1]
v_accvgpr_read_b32 v[vgprValuC+10], acc1 // copy acc to vreg[2]
v_accvgpr_read_b32 v[vgprValuC+11], acc17 // copy acc to vreg[3]
v_accvgpr_read_b32 v[vgprValuC+12], acc2 // copy acc to vreg[4]
v_accvgpr_read_b32 v[vgprValuC+13], acc18 // copy acc to vreg[5]
v_accvgpr_read_b32 v[vgprValuC+14], acc3 // copy acc to vreg[6]
v_accvgpr_read_b32 v[vgprValuC+15], acc19 // copy acc to vreg[7]
v_accvgpr_read_b32 v[vgprValuC+16], acc4 // copy acc to vreg[8]
v_accvgpr_read_b32 v[vgprValuC+17], acc20 // copy acc to vreg[9]
v_accvgpr_read_b32 v[vgprValuC+18], acc5 // copy acc to vreg[10]
v_accvgpr_read_b32 v[vgprValuC+19], acc21 // copy acc to vreg[11]
v_accvgpr_read_b32 v[vgprValuC+20], acc6 // copy acc to vreg[12]
v_accvgpr_read_b32 v[vgprValuC+21], acc22 // copy acc to vreg[13]
v_accvgpr_read_b32 v[vgprValuC+22], acc7 // copy acc to vreg[14]
v_accvgpr_read_b32 v[vgprValuC+23], acc23 // copy acc to vreg[15]
v_accvgpr_read_b32 v[vgprValuC+24], acc8 // copy acc to vreg[16]
v_accvgpr_read_b32 v[vgprValuC+25], acc24 // copy acc to vreg[17]
v_accvgpr_read_b32 v[vgprValuC+26], acc9 // copy acc to vreg[18]
v_accvgpr_read_b32 v[vgprValuC+27], acc25 // copy acc to vreg[19]
v_accvgpr_read_b32 v[vgprValuC+28], acc10 // copy acc to vreg[20]
v_accvgpr_read_b32 v[vgprValuC+29], acc26 // copy acc to vreg[21]
v_accvgpr_read_b32 v[vgprValuC+30], acc11 // copy acc to vreg[22]
v_accvgpr_read_b32 v[vgprValuC+31], acc27 // copy acc to vreg[23]
v_accvgpr_read_b32 v[vgprValuC+32], acc12 // copy acc to vreg[24]
v_accvgpr_read_b32 v[vgprValuC+33], acc28 // copy acc to vreg[25]
v_accvgpr_read_b32 v[vgprValuC+34], acc13 // copy acc to vreg[26]
v_accvgpr_read_b32 v[vgprValuC+35], acc29 // copy acc to vreg[27]
v_accvgpr_read_b32 v[vgprValuC+36], acc14 // copy acc to vreg[28]
v_accvgpr_read_b32 v[vgprValuC+37], acc30 // copy acc to vreg[29]
v_accvgpr_read_b32 v[vgprValuC+38], acc15 // copy acc to vreg[30]
v_accvgpr_read_b32 v[vgprValuC+39], acc31 // copy acc to vreg[31]
v_accvgpr_read_b32 v[vgprValuC+40], acc32 // copy acc to vreg[32]
v_accvgpr_read_b32 v[vgprValuC+41], acc48 // copy acc to vreg[33]
v_accvgpr_read_b32 v[vgprValuC+42], acc33 // copy acc to vreg[34]
v_accvgpr_read_b32 v[vgprValuC+43], acc49 // copy acc to vreg[35]
v_accvgpr_read_b32 v[vgprValuC+44], acc34 // copy acc to vreg[36]
v_accvgpr_read_b32 v[vgprValuC+45], acc50 // copy acc to vreg[37]
v_accvgpr_read_b32 v[vgprValuC+46], acc35 // copy acc to vreg[38]
v_accvgpr_read_b32 v[vgprValuC+47], acc51 // copy acc to vreg[39]
v_accvgpr_read_b32 v[vgprValuC+48], acc36 // copy acc to vreg[40]
v_accvgpr_read_b32 v[vgprValuC+49], acc52 // copy acc to vreg[41]
v_accvgpr_read_b32 v[vgprValuC+50], acc37 // copy acc to vreg[42]
v_accvgpr_read_b32 v[vgprValuC+51], acc53 // copy acc to vreg[43]
v_accvgpr_read_b32 v[vgprValuC+52], acc38 // copy acc to vreg[44]
v_accvgpr_read_b32 v[vgprValuC+53], acc54 // copy acc to vreg[45]
v_accvgpr_read_b32 v[vgprValuC+54], acc39 // copy acc to vreg[46]
v_accvgpr_read_b32 v[vgprValuC+55], acc55 // copy acc to vreg[47]
v_accvgpr_read_b32 v[vgprValuC+56], acc40 // copy acc to vreg[48]
v_accvgpr_read_b32 v[vgprValuC+57], acc56 // copy acc to vreg[49]
v_accvgpr_read_b32 v[vgprValuC+58], acc41 // copy acc to vreg[50]
v_accvgpr_read_b32 v[vgprValuC+59], acc57 // copy acc to vreg[51]
v_accvgpr_read_b32 v[vgprValuC+60], acc42 // copy acc to vreg[52]
v_accvgpr_read_b32 v[vgprValuC+61], acc58 // copy acc to vreg[53]
v_accvgpr_read_b32 v[vgprValuC+62], acc43 // copy acc to vreg[54]
v_accvgpr_read_b32 v[vgprValuC+63], acc59 // copy acc to vreg[55]
v_accvgpr_read_b32 v[vgprValuC+64], acc44 // copy acc to vreg[56]
v_accvgpr_read_b32 v[vgprValuC+65], acc60 // copy acc to vreg[57]
v_accvgpr_read_b32 v[vgprValuC+66], acc45 // copy acc to vreg[58]
v_accvgpr_read_b32 v[vgprValuC+67], acc61 // copy acc to vreg[59]
v_accvgpr_read_b32 v[vgprValuC+68], acc46 // copy acc to vreg[60]
v_accvgpr_read_b32 v[vgprValuC+69], acc62 // copy acc to vreg[61]
v_accvgpr_read_b32 v[vgprValuC+70], acc47 // copy acc to vreg[62]
v_accvgpr_read_b32 v[vgprValuC+71], acc63 // copy acc to vreg[63]
v_accvgpr_read_b32 v[vgprValuC+78], acc64 // copy acc to vreg[64]
v_accvgpr_read_b32 v[vgprValuC+79], acc80 // copy acc to vreg[65]
v_accvgpr_read_b32 v[vgprValuC+80], acc65 // copy acc to vreg[66]
v_accvgpr_read_b32 v[vgprValuC+81], acc81 // copy acc to vreg[67]
v_accvgpr_read_b32 v[vgprValuC+82], acc66 // copy acc to vreg[68]
v_accvgpr_read_b32 v[vgprValuC+83], acc82 // copy acc to vreg[69]
v_accvgpr_read_b32 v[vgprValuC+84], acc67 // copy acc to vreg[70]
v_accvgpr_read_b32 v[vgprValuC+85], acc83 // copy acc to vreg[71]
v_accvgpr_read_b32 v[vgprValuC+86], acc68 // copy acc to vreg[72]
v_accvgpr_read_b32 v[vgprValuC+87], acc84 // copy acc to vreg[73]
v_accvgpr_read_b32 v[vgprValuC+88], acc69 // copy acc to vreg[74]
v_accvgpr_read_b32 v[vgprValuC+89], acc85 // copy acc to vreg[75]
v_accvgpr_read_b32 v[vgprValuC+90], acc70 // copy acc to vreg[76]
v_accvgpr_read_b32 v[vgprValuC+91], acc86 // copy acc to vreg[77]
v_accvgpr_read_b32 v[vgprValuC+92], acc71 // copy acc to vreg[78]
v_accvgpr_read_b32 v[vgprValuC+93], acc87 // copy acc to vreg[79]
v_accvgpr_read_b32 v[vgprValuC+94], acc72 // copy acc to vreg[80]
v_accvgpr_read_b32 v[vgprValuC+95], acc88 // copy acc to vreg[81]
v_accvgpr_read_b32 v[vgprValuC+96], acc73 // copy acc to vreg[82]
v_accvgpr_read_b32 v[vgprValuC+97], acc89 // copy acc to vreg[83]
v_accvgpr_read_b32 v[vgprValuC+98], acc74 // copy acc to vreg[84]
v_accvgpr_read_b32 v[vgprValuC+99], acc90 // copy acc to vreg[85]
v_accvgpr_read_b32 v[vgprValuC+100], acc75 // copy acc to vreg[86]
v_accvgpr_read_b32 v[vgprValuC+101], acc91 // copy acc to vreg[87]
v_accvgpr_read_b32 v[vgprValuC+102], acc76 // copy acc to vreg[88]
v_accvgpr_read_b32 v[vgprValuC+103], acc92 // copy acc to vreg[89]
v_accvgpr_read_b32 v[vgprValuC+104], acc77 // copy acc to vreg[90]
v_accvgpr_read_b32 v[vgprValuC+105], acc93 // copy acc to vreg[91]
v_accvgpr_read_b32 v[vgprValuC+106], acc78 // copy acc to vreg[92]
v_accvgpr_read_b32 v[vgprValuC+107], acc94 // copy acc to vreg[93]
v_accvgpr_read_b32 v[vgprValuC+108], acc79 // copy acc to vreg[94]
v_accvgpr_read_b32 v[vgprValuC+109], acc95 // copy acc to vreg[95]
s_nop 1                                            // 2 wait states required before reading vgpr

/* rC *= alpha batchElements=[(0, 0, 0, 0), (0, 1, 0, 0), (0, 0, 1, 0), (0, 1, 1, 0), (0, 0, 2, 0), (0, 1, 2, 0), (0, 0, 3, 0), (0, 1, 3, 0), (1, 0, 0, 0), (1, 1, 0, 0), (1, 0, 1, 0), (1, 1, 1, 0), (1, 0, 2, 0), (1, 1, 2, 0), (1, 0, 3, 0), (1, 1, 3, 0), (2, 0, 0, 0), (2, 1, 0, 0), (2, 0, 1, 0), (2, 1, 1, 0), (2, 0, 2, 0), (2, 1, 2, 0), (2, 0, 3, 0), (2, 1, 3, 0), (3, 0, 0, 0), (3, 1, 0, 0), (3, 0, 1, 0), (3, 1, 1, 0), (3, 0, 2, 0), (3, 1, 2, 0), (3, 0, 3, 0), (3, 1, 3, 0), (4, 0, 0, 0), (4, 1, 0, 0), (4, 0, 1, 0), (4, 1, 1, 0), (4, 0, 2, 0), (4, 1, 2, 0), (4, 0, 3, 0), (4, 1, 3, 0), (5, 0, 0, 0), (5, 1, 0, 0), (5, 0, 1, 0), (5, 1, 1, 0), (5, 0, 2, 0), (5, 1, 2, 0), (5, 0, 3, 0), (5, 1, 3, 0), (6, 0, 0, 0), (6, 1, 0, 0), (6, 0, 1, 0), (6, 1, 1, 0), (6, 0, 2, 0), (6, 1, 2, 0), (6, 0, 3, 0), (6, 1, 3, 0), (7, 0, 0, 0), (7, 1, 0, 0), (7, 0, 1, 0), (7, 1, 1, 0), (7, 0, 2, 0), (7, 1, 2, 0), (7, 0, 3, 0), (7, 1, 3, 0), (8, 0, 0, 0), (8, 1, 0, 0), (8, 0, 1, 0), (8, 1, 1, 0), (8, 0, 2, 0), (8, 1, 2, 0), (8, 0, 3, 0), (8, 1, 3, 0), (9, 0, 0, 0), (9, 1, 0, 0), (9, 0, 1, 0), (9, 1, 1, 0), (9, 0, 2, 0), (9, 1, 2, 0), (9, 0, 3, 0), (9, 1, 3, 0), (10, 0, 0, 0), (10, 1, 0, 0), (10, 0, 1, 0), (10, 1, 1, 0), (10, 0, 2, 0), (10, 1, 2, 0), (10, 0, 3, 0), (10, 1, 3, 0), (11, 0, 0, 0), (11, 1, 0, 0), (11, 0, 1, 0), (11, 1, 1, 0), (11, 0, 2, 0), (11, 1, 2, 0), (11, 0, 3, 0), (11, 1, 3, 0)] */

/* apply mask, calc new C and issue writes */
_buffer_store_b32 v8, v6, s[sgprSrdD:sgprSrdD+3], 0, offen, offset:0 // store D
_buffer_store_b32 v9, v6, s[sgprSrdD:sgprSrdD+3], 0, offen, offset:256 // store D
s_lshl_b32  s10, s[sgprStrideD1J], 2               // incToNextRow: Scale by BPE
s_add_u32  s[sgprSrdD+0], s[sgprSrdD+0], s10       // incToNextRow: gra SRD += inc(lower)
s_addc_u32  s[sgprSrdD+1], s[sgprSrdD+1], 0        // incToNextRow: gra SRD += inc(upper)
_buffer_store_b32 v10, v6, s[sgprSrdD:sgprSrdD+3], 0, offen, offset:0 // store D
_buffer_store_b32 v11, v6, s[sgprSrdD:sgprSrdD+3], 0, offen, offset:256 // store D
s_lshl_b32  s10, s[sgprStrideD1J], 2               // incToNextRow: Scale by BPE
s_add_u32  s[sgprSrdD+0], s[sgprSrdD+0], s10       // incToNextRow: gra SRD += inc(lower)
s_addc_u32  s[sgprSrdD+1], s[sgprSrdD+1], 0        // incToNextRow: gra SRD += inc(upper)
_buffer_store_b32 v12, v6, s[sgprSrdD:sgprSrdD+3], 0, offen, offset:0 // store D
_buffer_store_b32 v13, v6, s[sgprSrdD:sgprSrdD+3], 0, offen, offset:256 // store D
s_lshl_b32  s10, s[sgprStrideD1J], 2               // incToNextRow: Scale by BPE
s_add_u32  s[sgprSrdD+0], s[sgprSrdD+0], s10       // incToNextRow: gra SRD += inc(lower)
s_addc_u32  s[sgprSrdD+1], s[sgprSrdD+1], 0        // incToNextRow: gra SRD += inc(upper)
_buffer_store_b32 v14, v6, s[sgprSrdD:sgprSrdD+3], 0, offen, offset:0 // store D
_buffer_store_b32 v15, v6, s[sgprSrdD:sgprSrdD+3], 0, offen, offset:256 // store D
s_mul_i32 s10, s[sgprStrideD1J], 20                // scale StrideD *= numRows(5) * bpe
s_add_u32  s[sgprSrdD+0], s[sgprSrdD+0], s10       // incToNextRow: gra SRD += inc(lower)
s_addc_u32  s[sgprSrdD+1], s[sgprSrdD+1], 0        // incToNextRow: gra SRD += inc(upper)
_buffer_store_b32 v16, v6, s[sgprSrdD:sgprSrdD+3], 0, offen, offset:0 // store D
_buffer_store_b32 v17, v6, s[sgprSrdD:sgprSrdD+3], 0, offen, offset:256 // store D
s_lshl_b32  s10, s[sgprStrideD1J], 2               // incToNextRow: Scale by BPE
s_add_u32  s[sgprSrdD+0], s[sgprSrdD+0], s10       // incToNextRow: gra SRD += inc(lower)
s_addc_u32  s[sgprSrdD+1], s[sgprSrdD+1], 0        // incToNextRow: gra SRD += inc(upper)
_buffer_store_b32 v18, v6, s[sgprSrdD:sgprSrdD+3], 0, offen, offset:0 // store D
_buffer_store_b32 v19, v6, s[sgprSrdD:sgprSrdD+3], 0, offen, offset:256 // store D
s_lshl_b32  s10, s[sgprStrideD1J], 2               // incToNextRow: Scale by BPE
s_add_u32  s[sgprSrdD+0], s[sgprSrdD+0], s10       // incToNextRow: gra SRD += inc(lower)
s_addc_u32  s[sgprSrdD+1], s[sgprSrdD+1], 0        // incToNextRow: gra SRD += inc(upper)
_buffer_store_b32 v20, v6, s[sgprSrdD:sgprSrdD+3], 0, offen, offset:0 // store D
_buffer_store_b32 v21, v6, s[sgprSrdD:sgprSrdD+3], 0, offen, offset:256 // store D
s_lshl_b32  s10, s[sgprStrideD1J], 2               // incToNextRow: Scale by BPE
s_add_u32  s[sgprSrdD+0], s[sgprSrdD+0], s10       // incToNextRow: gra SRD += inc(lower)
s_addc_u32  s[sgprSrdD+1], s[sgprSrdD+1], 0        // incToNextRow: gra SRD += inc(upper)
_buffer_store_b32 v22, v6, s[sgprSrdD:sgprSrdD+3], 0, offen, offset:0 // store D
_buffer_store_b32 v23, v6, s[sgprSrdD:sgprSrdD+3], 0, offen, offset:256 // store D
s_mul_i32 s10, s[sgprStrideD1J], 20                // scale StrideD *= numRows(5) * bpe
s_add_u32  s[sgprSrdD+0], s[sgprSrdD+0], s10       // incToNextRow: gra SRD += inc(lower)
s_addc_u32  s[sgprSrdD+1], s[sgprSrdD+1], 0        // incToNextRow: gra SRD += inc(upper)
	;; [unrolled: 20-line block ×3, first 2 shown]
_buffer_store_b32 v32, v6, s[sgprSrdD:sgprSrdD+3], 0, offen, offset:0 // store D
_buffer_store_b32 v33, v6, s[sgprSrdD:sgprSrdD+3], 0, offen, offset:256 // store D
s_lshl_b32  s10, s[sgprStrideD1J], 2               // incToNextRow: Scale by BPE
s_add_u32  s[sgprSrdD+0], s[sgprSrdD+0], s10       // incToNextRow: gra SRD += inc(lower)
s_addc_u32  s[sgprSrdD+1], s[sgprSrdD+1], 0        // incToNextRow: gra SRD += inc(upper)
_buffer_store_b32 v34, v6, s[sgprSrdD:sgprSrdD+3], 0, offen, offset:0 // store D
_buffer_store_b32 v35, v6, s[sgprSrdD:sgprSrdD+3], 0, offen, offset:256 // store D
s_lshl_b32  s10, s[sgprStrideD1J], 2               // incToNextRow: Scale by BPE
s_add_u32  s[sgprSrdD+0], s[sgprSrdD+0], s10       // incToNextRow: gra SRD += inc(lower)
s_addc_u32  s[sgprSrdD+1], s[sgprSrdD+1], 0        // incToNextRow: gra SRD += inc(upper)
	;; [unrolled: 5-line block ×3, first 2 shown]
_buffer_store_b32 v38, v6, s[sgprSrdD:sgprSrdD+3], 0, offen, offset:0 // store D
_buffer_store_b32 v39, v6, s[sgprSrdD:sgprSrdD+3], 0, offen, offset:256 // store D
s_mul_i32 s10, s[sgprStrideD1J], 148               // scale StrideD *= numRows(37) * bpe
s_add_u32  s[sgprSrdD+0], s[sgprSrdD+0], s10       // incToNextRow: gra SRD += inc(lower)
s_addc_u32  s[sgprSrdD+1], s[sgprSrdD+1], 0        // incToNextRow: gra SRD += inc(upper)
_buffer_store_b32 v40, v6, s[sgprSrdD:sgprSrdD+3], 0, offen, offset:0 // store D
_buffer_store_b32 v41, v6, s[sgprSrdD:sgprSrdD+3], 0, offen, offset:256 // store D
s_lshl_b32  s10, s[sgprStrideD1J], 2               // incToNextRow: Scale by BPE
s_add_u32  s[sgprSrdD+0], s[sgprSrdD+0], s10       // incToNextRow: gra SRD += inc(lower)
s_addc_u32  s[sgprSrdD+1], s[sgprSrdD+1], 0        // incToNextRow: gra SRD += inc(upper)
_buffer_store_b32 v42, v6, s[sgprSrdD:sgprSrdD+3], 0, offen, offset:0 // store D
_buffer_store_b32 v43, v6, s[sgprSrdD:sgprSrdD+3], 0, offen, offset:256 // store D
s_lshl_b32  s10, s[sgprStrideD1J], 2               // incToNextRow: Scale by BPE
s_add_u32  s[sgprSrdD+0], s[sgprSrdD+0], s10       // incToNextRow: gra SRD += inc(lower)
s_addc_u32  s[sgprSrdD+1], s[sgprSrdD+1], 0        // incToNextRow: gra SRD += inc(upper)
_buffer_store_b32 v44, v6, s[sgprSrdD:sgprSrdD+3], 0, offen, offset:0 // store D
_buffer_store_b32 v45, v6, s[sgprSrdD:sgprSrdD+3], 0, offen, offset:256 // store D
s_lshl_b32  s10, s[sgprStrideD1J], 2               // incToNextRow: Scale by BPE
s_add_u32  s[sgprSrdD+0], s[sgprSrdD+0], s10       // incToNextRow: gra SRD += inc(lower)
s_addc_u32  s[sgprSrdD+1], s[sgprSrdD+1], 0        // incToNextRow: gra SRD += inc(upper)
_buffer_store_b32 v46, v6, s[sgprSrdD:sgprSrdD+3], 0, offen, offset:0 // store D
_buffer_store_b32 v47, v6, s[sgprSrdD:sgprSrdD+3], 0, offen, offset:256 // store D
s_mul_i32 s10, s[sgprStrideD1J], 20                // scale StrideD *= numRows(5) * bpe
s_add_u32  s[sgprSrdD+0], s[sgprSrdD+0], s10       // incToNextRow: gra SRD += inc(lower)
s_addc_u32  s[sgprSrdD+1], s[sgprSrdD+1], 0        // incToNextRow: gra SRD += inc(upper)
_buffer_store_b32 v48, v6, s[sgprSrdD:sgprSrdD+3], 0, offen, offset:0 // store D
_buffer_store_b32 v49, v6, s[sgprSrdD:sgprSrdD+3], 0, offen, offset:256 // store D
s_lshl_b32  s10, s[sgprStrideD1J], 2               // incToNextRow: Scale by BPE
s_add_u32  s[sgprSrdD+0], s[sgprSrdD+0], s10       // incToNextRow: gra SRD += inc(lower)
s_addc_u32  s[sgprSrdD+1], s[sgprSrdD+1], 0        // incToNextRow: gra SRD += inc(upper)
_buffer_store_b32 v50, v6, s[sgprSrdD:sgprSrdD+3], 0, offen, offset:0 // store D
_buffer_store_b32 v51, v6, s[sgprSrdD:sgprSrdD+3], 0, offen, offset:256 // store D
s_lshl_b32  s10, s[sgprStrideD1J], 2               // incToNextRow: Scale by BPE
s_add_u32  s[sgprSrdD+0], s[sgprSrdD+0], s10       // incToNextRow: gra SRD += inc(lower)
s_addc_u32  s[sgprSrdD+1], s[sgprSrdD+1], 0        // incToNextRow: gra SRD += inc(upper)
_buffer_store_b32 v52, v6, s[sgprSrdD:sgprSrdD+3], 0, offen, offset:0 // store D
_buffer_store_b32 v53, v6, s[sgprSrdD:sgprSrdD+3], 0, offen, offset:256 // store D
s_lshl_b32  s10, s[sgprStrideD1J], 2               // incToNextRow: Scale by BPE
s_add_u32  s[sgprSrdD+0], s[sgprSrdD+0], s10       // incToNextRow: gra SRD += inc(lower)
s_addc_u32  s[sgprSrdD+1], s[sgprSrdD+1], 0        // incToNextRow: gra SRD += inc(upper)
_buffer_store_b32 v54, v6, s[sgprSrdD:sgprSrdD+3], 0, offen, offset:0 // store D
_buffer_store_b32 v55, v6, s[sgprSrdD:sgprSrdD+3], 0, offen, offset:256 // store D
s_mul_i32 s10, s[sgprStrideD1J], 20                // scale StrideD *= numRows(5) * bpe
	;; [unrolled: 20-line block ×3, first 2 shown]
s_add_u32  s[sgprSrdD+0], s[sgprSrdD+0], s10       // incToNextRow: gra SRD += inc(lower)
s_addc_u32  s[sgprSrdD+1], s[sgprSrdD+1], 0        // incToNextRow: gra SRD += inc(upper)
_buffer_store_b32 v64, v6, s[sgprSrdD:sgprSrdD+3], 0, offen, offset:0 // store D
_buffer_store_b32 v65, v6, s[sgprSrdD:sgprSrdD+3], 0, offen, offset:256 // store D
s_lshl_b32  s10, s[sgprStrideD1J], 2               // incToNextRow: Scale by BPE
s_add_u32  s[sgprSrdD+0], s[sgprSrdD+0], s10       // incToNextRow: gra SRD += inc(lower)
s_addc_u32  s[sgprSrdD+1], s[sgprSrdD+1], 0        // incToNextRow: gra SRD += inc(upper)
_buffer_store_b32 v66, v6, s[sgprSrdD:sgprSrdD+3], 0, offen, offset:0 // store D
_buffer_store_b32 v67, v6, s[sgprSrdD:sgprSrdD+3], 0, offen, offset:256 // store D
s_lshl_b32  s10, s[sgprStrideD1J], 2               // incToNextRow: Scale by BPE
	;; [unrolled: 5-line block ×3, first 2 shown]
s_add_u32  s[sgprSrdD+0], s[sgprSrdD+0], s10       // incToNextRow: gra SRD += inc(lower)
s_addc_u32  s[sgprSrdD+1], s[sgprSrdD+1], 0        // incToNextRow: gra SRD += inc(upper)
_buffer_store_b32 v70, v6, s[sgprSrdD:sgprSrdD+3], 0, offen, offset:0 // store D
_buffer_store_b32 v71, v6, s[sgprSrdD:sgprSrdD+3], 0, offen, offset:256 // store D
s_mul_i32 s10, s[sgprStrideD1J], 148               // scale StrideD *= numRows(37) * bpe
s_add_u32  s[sgprSrdD+0], s[sgprSrdD+0], s10       // incToNextRow: gra SRD += inc(lower)
s_addc_u32  s[sgprSrdD+1], s[sgprSrdD+1], 0        // incToNextRow: gra SRD += inc(upper)
_buffer_store_b32 v78, v6, s[sgprSrdD:sgprSrdD+3], 0, offen, offset:0 // store D
_buffer_store_b32 v79, v6, s[sgprSrdD:sgprSrdD+3], 0, offen, offset:256 // store D
s_lshl_b32  s10, s[sgprStrideD1J], 2               // incToNextRow: Scale by BPE
s_add_u32  s[sgprSrdD+0], s[sgprSrdD+0], s10       // incToNextRow: gra SRD += inc(lower)
s_addc_u32  s[sgprSrdD+1], s[sgprSrdD+1], 0        // incToNextRow: gra SRD += inc(upper)
_buffer_store_b32 v80, v6, s[sgprSrdD:sgprSrdD+3], 0, offen, offset:0 // store D
_buffer_store_b32 v81, v6, s[sgprSrdD:sgprSrdD+3], 0, offen, offset:256 // store D
s_lshl_b32  s10, s[sgprStrideD1J], 2               // incToNextRow: Scale by BPE
s_add_u32  s[sgprSrdD+0], s[sgprSrdD+0], s10       // incToNextRow: gra SRD += inc(lower)
s_addc_u32  s[sgprSrdD+1], s[sgprSrdD+1], 0        // incToNextRow: gra SRD += inc(upper)
_buffer_store_b32 v82, v6, s[sgprSrdD:sgprSrdD+3], 0, offen, offset:0 // store D
_buffer_store_b32 v83, v6, s[sgprSrdD:sgprSrdD+3], 0, offen, offset:256 // store D
s_lshl_b32  s10, s[sgprStrideD1J], 2               // incToNextRow: Scale by BPE
s_add_u32  s[sgprSrdD+0], s[sgprSrdD+0], s10       // incToNextRow: gra SRD += inc(lower)
s_addc_u32  s[sgprSrdD+1], s[sgprSrdD+1], 0        // incToNextRow: gra SRD += inc(upper)
_buffer_store_b32 v84, v6, s[sgprSrdD:sgprSrdD+3], 0, offen, offset:0 // store D
_buffer_store_b32 v85, v6, s[sgprSrdD:sgprSrdD+3], 0, offen, offset:256 // store D
s_mul_i32 s10, s[sgprStrideD1J], 20                // scale StrideD *= numRows(5) * bpe
s_add_u32  s[sgprSrdD+0], s[sgprSrdD+0], s10       // incToNextRow: gra SRD += inc(lower)
s_addc_u32  s[sgprSrdD+1], s[sgprSrdD+1], 0        // incToNextRow: gra SRD += inc(upper)
_buffer_store_b32 v86, v6, s[sgprSrdD:sgprSrdD+3], 0, offen, offset:0 // store D
_buffer_store_b32 v87, v6, s[sgprSrdD:sgprSrdD+3], 0, offen, offset:256 // store D
s_lshl_b32  s10, s[sgprStrideD1J], 2               // incToNextRow: Scale by BPE
s_add_u32  s[sgprSrdD+0], s[sgprSrdD+0], s10       // incToNextRow: gra SRD += inc(lower)
s_addc_u32  s[sgprSrdD+1], s[sgprSrdD+1], 0        // incToNextRow: gra SRD += inc(upper)
_buffer_store_b32 v88, v6, s[sgprSrdD:sgprSrdD+3], 0, offen, offset:0 // store D
_buffer_store_b32 v89, v6, s[sgprSrdD:sgprSrdD+3], 0, offen, offset:256 // store D
s_lshl_b32  s10, s[sgprStrideD1J], 2               // incToNextRow: Scale by BPE
s_add_u32  s[sgprSrdD+0], s[sgprSrdD+0], s10       // incToNextRow: gra SRD += inc(lower)
s_addc_u32  s[sgprSrdD+1], s[sgprSrdD+1], 0        // incToNextRow: gra SRD += inc(upper)
_buffer_store_b32 v90, v6, s[sgprSrdD:sgprSrdD+3], 0, offen, offset:0 // store D
_buffer_store_b32 v91, v6, s[sgprSrdD:sgprSrdD+3], 0, offen, offset:256 // store D
s_lshl_b32  s10, s[sgprStrideD1J], 2               // incToNextRow: Scale by BPE
s_add_u32  s[sgprSrdD+0], s[sgprSrdD+0], s10       // incToNextRow: gra SRD += inc(lower)
s_addc_u32  s[sgprSrdD+1], s[sgprSrdD+1], 0        // incToNextRow: gra SRD += inc(upper)
_buffer_store_b32 v92, v6, s[sgprSrdD:sgprSrdD+3], 0, offen, offset:0 // store D
_buffer_store_b32 v93, v6, s[sgprSrdD:sgprSrdD+3], 0, offen, offset:256 // store D
s_mul_i32 s10, s[sgprStrideD1J], 20                // scale StrideD *= numRows(5) * bpe
	;; [unrolled: 20-line block ×3, first 2 shown]
s_add_u32  s[sgprSrdD+0], s[sgprSrdD+0], s10       // incToNextRow: gra SRD += inc(lower)
s_addc_u32  s[sgprSrdD+1], s[sgprSrdD+1], 0        // incToNextRow: gra SRD += inc(upper)
_buffer_store_b32 v102, v6, s[sgprSrdD:sgprSrdD+3], 0, offen, offset:0 // store D
_buffer_store_b32 v103, v6, s[sgprSrdD:sgprSrdD+3], 0, offen, offset:256 // store D
s_lshl_b32  s10, s[sgprStrideD1J], 2               // incToNextRow: Scale by BPE
s_add_u32  s[sgprSrdD+0], s[sgprSrdD+0], s10       // incToNextRow: gra SRD += inc(lower)
s_addc_u32  s[sgprSrdD+1], s[sgprSrdD+1], 0        // incToNextRow: gra SRD += inc(upper)
_buffer_store_b32 v104, v6, s[sgprSrdD:sgprSrdD+3], 0, offen, offset:0 // store D
_buffer_store_b32 v105, v6, s[sgprSrdD:sgprSrdD+3], 0, offen, offset:256 // store D
s_lshl_b32  s10, s[sgprStrideD1J], 2               // incToNextRow: Scale by BPE
	;; [unrolled: 5-line block ×3, first 2 shown]
s_add_u32  s[sgprSrdD+0], s[sgprSrdD+0], s10       // incToNextRow: gra SRD += inc(lower)
s_addc_u32  s[sgprSrdD+1], s[sgprSrdD+1], 0        // incToNextRow: gra SRD += inc(upper)
_buffer_store_b32 v108, v6, s[sgprSrdD:sgprSrdD+3], 0, offen, offset:0 // store D
_buffer_store_b32 v109, v6, s[sgprSrdD:sgprSrdD+3], 0, offen, offset:256 // store D
s_nop 0                                            // 1 wait state required when next inst writes vgprs held by previous dwordx4 store inst
s_branch label_GW_End_146                          // jump to end
GW_B0_E1_144:

/* edge=1, allocate 6 sgpr. perBatchTmpS=4 perBatchMaskS=2 perElementMaskS=0 elementsPerBatch=122 */
/* optSingleColVgpr=0 optSharedColVgpr=0 optSGPRUsage=BufferLoad_Edge_Mask optSrdIncForRow=0 */

/******************************************/
/* Global Write Alpha Edge Batch #0 (d1,d0,vc1,vc0) = */
/*    (0,0,0,0:vw1); (0,1,0,0:vw1); (0,0,1,0:vw1); (0,1,1,0:vw1); (0,0,2,0:vw1); (0,1,2,0:vw1); (0,0,3,0:vw1); (0,1,3,0:vw1); (1,0,0,0:vw1); (1,1,0,0:vw1); (1,0,1,0:vw1); (1,1,1,0:vw1); (1,0,2,0:vw1); (1,1,2,0:vw1); (1,0,3,0:vw1); (1,1,3,0:vw1); (2,0,0,0:vw1); (2,1,0,0:vw1); (2,0,1,0:vw1); (2,1,1,0:vw1); (2,0,2,0:vw1); (2,1,2,0:vw1); (2,0,3,0:vw1); (2,1,3,0:vw1); (3,0,0,0:vw1); (3,1,0,0:vw1); (3,0,1,0:vw1); (3,1,1,0:vw1); (3,0,2,0:vw1); (3,1,2,0:vw1); (3,0,3,0:vw1); (3,1,3,0:vw1); (4,0,0,0:vw1); (4,1,0,0:vw1); (4,0,1,0:vw1); (4,1,1,0:vw1); (4,0,2,0:vw1); (4,1,2,0:vw1); (4,0,3,0:vw1); (4,1,3,0:vw1); (5,0,0,0:vw1); (5,1,0,0:vw1); (5,0,1,0:vw1); (5,1,1,0:vw1); (5,0,2,0:vw1); (5,1,2,0:vw1); (5,0,3,0:vw1); (5,1,3,0:vw1); (6,0,0,0:vw1); (6,1,0,0:vw1); (6,0,1,0:vw1); (6,1,1,0:vw1); (6,0,2,0:vw1); (6,1,2,0:vw1); (6,0,3,0:vw1); (6,1,3,0:vw1); (7,0,0,0:vw1); (7,1,0,0:vw1); (7,0,1,0:vw1); (7,1,1,0:vw1); (7,0,2,0:vw1); (7,1,2,0:vw1); (7,0,3,0:vw1); (7,1,3,0:vw1); (8,0,0,0:vw1); (8,1,0,0:vw1); (8,0,1,0:vw1); (8,1,1,0:vw1); (8,0,2,0:vw1); (8,1,2,0:vw1); (8,0,3,0:vw1); (8,1,3,0:vw1); (9,0,0,0:vw1); (9,1,0,0:vw1); (9,0,1,0:vw1); (9,1,1,0:vw1); (9,0,2,0:vw1); (9,1,2,0:vw1); (9,0,3,0:vw1); (9,1,3,0:vw1); (10,0,0,0:vw1); (10,1,0,0:vw1); (10,0,1,0:vw1); (10,1,1,0:vw1); (10,0,2,0:vw1); (10,1,2,0:vw1); (10,0,3,0:vw1); (10,1,3,0:vw1); (11,0,0,0:vw1); (11,1,0,0:vw1); (11,0,1,0:vw1); (11,1,1,0:vw1); (11,0,2,0:vw1); (11,1,2,0:vw1); (11,0,3,0:vw1); (11,1,3,0:vw1) */
/******************************************/

/* calc coords, apply mask, and issue loads (if necessary) */
/* (d1,vc1,d0,vc0)=(0,0,0,0) */
v_cmp_lt_u32 s[56:57], v0, s[sgprSizeI]            // coord0 < size0
v_cmp_lt_u32 s[60:61], v1, s[sgprSizeJ]            // coord1 < size1
s_and_b64 s[60:61], s[56:57], s[60:61]             // in0 && in1
_v_add_lshl_u32 v6, v3, v0, 0x2                    // scaleToBpe: accumulate d0 lower and *= bpe into Cin addr
v_cndmask_b32 v6, -1, v6, s[60:61]                 // LDD clip if OOB. offset
/* (d1,vc1,d0,vc0)=(0,0,1,0) */
_v_add_co_u32 v4, vcc, v0, 64                      // coord0.1: coord0 += d0*sg0*VW + vc0
v_cmp_lt_u32 s[56:57], v4, s[sgprSizeI]            // coord0 < size0
v_cmp_lt_u32 s[60:61], v1, s[sgprSizeJ]            // coord1 < size1
s_and_b64 s[60:61], s[56:57], s[60:61]             // in0 && in1
_v_add_lshl_u32 v8, v3, v4, 0x2                    // scaleToBpe: accumulate d0 lower and *= bpe into Cin addr
v_cndmask_b32 v8, -1, v8, s[60:61]                 // LDD clip if OOB. offset
/* (d1,vc1,d0,vc0)=(0,1,0,0) */
_v_add_co_u32 v1, vcc, v1, 1                       // coord1.1: coord1Vgpr += d1*sg1*VW + vc1

/* Fix for UseInitialStridesCD, emitAddressSetupCode */
_v_add_u32 v2, v2, s[sgprStrideC1J]                // ROWINC- Move cinRowPtr to next row
_v_add_u32 v3, v3, s[sgprStrideD1J]                // Move coutRowPtr to next row
v_cmp_lt_u32 s[56:57], v0, s[sgprSizeI]            // coord0 < size0
v_cmp_lt_u32 s[60:61], v1, s[sgprSizeJ]            // coord1 < size1
s_and_b64 s[60:61], s[56:57], s[60:61]             // in0 && in1
_v_add_lshl_u32 v10, v3, v0, 0x2                   // scaleToBpe: accumulate d0 lower and *= bpe into Cin addr
v_cndmask_b32 v10, -1, v10, s[60:61]               // LDD clip if OOB. offset
/* (d1,vc1,d0,vc0)=(0,1,1,0) */
_v_add_co_u32 v4, vcc, v0, 64                      // coord0.1: coord0 += d0*sg0*VW + vc0
v_cmp_lt_u32 s[56:57], v4, s[sgprSizeI]            // coord0 < size0
v_cmp_lt_u32 s[60:61], v1, s[sgprSizeJ]            // coord1 < size1
s_and_b64 s[60:61], s[56:57], s[60:61]             // in0 && in1
_v_add_lshl_u32 v12, v3, v4, 0x2                   // scaleToBpe: accumulate d0 lower and *= bpe into Cin addr
v_cndmask_b32 v12, -1, v12, s[60:61]               // LDD clip if OOB. offset
/* (d1,vc1,d0,vc0)=(0,2,0,0) */
_v_add_co_u32 v1, vcc, v1, 1                       // coord1.1: coord1Vgpr += d1*sg1*VW + vc1

/* Fix for UseInitialStridesCD, emitAddressSetupCode */
_v_add_u32 v2, v2, s[sgprStrideC1J]                // ROWINC- Move cinRowPtr to next row
_v_add_u32 v3, v3, s[sgprStrideD1J]                // Move coutRowPtr to next row
v_cmp_lt_u32 s[56:57], v0, s[sgprSizeI]            // coord0 < size0
v_cmp_lt_u32 s[60:61], v1, s[sgprSizeJ]            // coord1 < size1
s_and_b64 s[60:61], s[56:57], s[60:61]             // in0 && in1
_v_add_lshl_u32 v14, v3, v0, 0x2                   // scaleToBpe: accumulate d0 lower and *= bpe into Cin addr
v_cndmask_b32 v14, -1, v14, s[60:61]               // LDD clip if OOB. offset
/* (d1,vc1,d0,vc0)=(0,2,1,0) */
_v_add_co_u32 v4, vcc, v0, 64                      // coord0.1: coord0 += d0*sg0*VW + vc0
v_cmp_lt_u32 s[56:57], v4, s[sgprSizeI]            // coord0 < size0
v_cmp_lt_u32 s[60:61], v1, s[sgprSizeJ]            // coord1 < size1
s_and_b64 s[60:61], s[56:57], s[60:61]             // in0 && in1
_v_add_lshl_u32 v16, v3, v4, 0x2                   // scaleToBpe: accumulate d0 lower and *= bpe into Cin addr
v_cndmask_b32 v16, -1, v16, s[60:61]               // LDD clip if OOB. offset
	;; [unrolled: 18-line block ×3, first 2 shown]
/* (d1,vc1,d0,vc0)=(1,0,0,0) */
_v_add_co_u32 v1, vcc, v1, 5                       // coord1.1: coord1Vgpr += d1*sg1*VW + vc1

/* Fix for UseInitialStridesCD, emitAddressSetupCode */
s_mul_i32 s56, s[sgprStrideC1J], 5                 // scale stride
_v_add_u32 v2, v2, s56                             // ROWINC- Move cinRowPtr to next row
s_mul_i32 s56, s[sgprStrideD1J], 5                 // scale stride
_v_add_u32 v3, v3, s56                             // Move coutRowPtr to next row
v_cmp_lt_u32 s[56:57], v0, s[sgprSizeI]            // coord0 < size0
v_cmp_lt_u32 s[60:61], v1, s[sgprSizeJ]            // coord1 < size1
s_and_b64 s[60:61], s[56:57], s[60:61]             // in0 && in1
_v_add_lshl_u32 v22, v3, v0, 0x2                   // scaleToBpe: accumulate d0 lower and *= bpe into Cin addr
v_cndmask_b32 v22, -1, v22, s[60:61]               // LDD clip if OOB. offset
/* (d1,vc1,d0,vc0)=(1,0,1,0) */
_v_add_co_u32 v4, vcc, v0, 64                      // coord0.1: coord0 += d0*sg0*VW + vc0
v_cmp_lt_u32 s[56:57], v4, s[sgprSizeI]            // coord0 < size0
v_cmp_lt_u32 s[60:61], v1, s[sgprSizeJ]            // coord1 < size1
s_and_b64 s[60:61], s[56:57], s[60:61]             // in0 && in1
_v_add_lshl_u32 v24, v3, v4, 0x2                   // scaleToBpe: accumulate d0 lower and *= bpe into Cin addr
v_cndmask_b32 v24, -1, v24, s[60:61]               // LDD clip if OOB. offset
/* (d1,vc1,d0,vc0)=(1,1,0,0) */
_v_add_co_u32 v1, vcc, v1, 1                       // coord1.1: coord1Vgpr += d1*sg1*VW + vc1

/* Fix for UseInitialStridesCD, emitAddressSetupCode */
_v_add_u32 v2, v2, s[sgprStrideC1J]                // ROWINC- Move cinRowPtr to next row
_v_add_u32 v3, v3, s[sgprStrideD1J]                // Move coutRowPtr to next row
v_cmp_lt_u32 s[56:57], v0, s[sgprSizeI]            // coord0 < size0
v_cmp_lt_u32 s[60:61], v1, s[sgprSizeJ]            // coord1 < size1
s_and_b64 s[60:61], s[56:57], s[60:61]             // in0 && in1
_v_add_lshl_u32 v26, v3, v0, 0x2                   // scaleToBpe: accumulate d0 lower and *= bpe into Cin addr
v_cndmask_b32 v26, -1, v26, s[60:61]               // LDD clip if OOB. offset
/* (d1,vc1,d0,vc0)=(1,1,1,0) */
_v_add_co_u32 v4, vcc, v0, 64                      // coord0.1: coord0 += d0*sg0*VW + vc0
v_cmp_lt_u32 s[56:57], v4, s[sgprSizeI]            // coord0 < size0
v_cmp_lt_u32 s[60:61], v1, s[sgprSizeJ]            // coord1 < size1
s_and_b64 s[60:61], s[56:57], s[60:61]             // in0 && in1
_v_add_lshl_u32 v28, v3, v4, 0x2                   // scaleToBpe: accumulate d0 lower and *= bpe into Cin addr
v_cndmask_b32 v28, -1, v28, s[60:61]               // LDD clip if OOB. offset
/* (d1,vc1,d0,vc0)=(1,2,0,0) */
_v_add_co_u32 v1, vcc, v1, 1                       // coord1.1: coord1Vgpr += d1*sg1*VW + vc1

/* Fix for UseInitialStridesCD, emitAddressSetupCode */
_v_add_u32 v2, v2, s[sgprStrideC1J]                // ROWINC- Move cinRowPtr to next row
_v_add_u32 v3, v3, s[sgprStrideD1J]                // Move coutRowPtr to next row
	;; [unrolled: 18-line block ×3, first 2 shown]
v_cmp_lt_u32 s[56:57], v0, s[sgprSizeI]            // coord0 < size0
v_cmp_lt_u32 s[60:61], v1, s[sgprSizeJ]            // coord1 < size1
s_and_b64 s[60:61], s[56:57], s[60:61]             // in0 && in1
_v_add_lshl_u32 v34, v3, v0, 0x2                   // scaleToBpe: accumulate d0 lower and *= bpe into Cin addr
v_cndmask_b32 v34, -1, v34, s[60:61]               // LDD clip if OOB. offset
/* (d1,vc1,d0,vc0)=(1,3,1,0) */
_v_add_co_u32 v4, vcc, v0, 64                      // coord0.1: coord0 += d0*sg0*VW + vc0
v_cmp_lt_u32 s[56:57], v4, s[sgprSizeI]            // coord0 < size0
v_cmp_lt_u32 s[60:61], v1, s[sgprSizeJ]            // coord1 < size1
s_and_b64 s[60:61], s[56:57], s[60:61]             // in0 && in1
_v_add_lshl_u32 v36, v3, v4, 0x2                   // scaleToBpe: accumulate d0 lower and *= bpe into Cin addr
v_cndmask_b32 v36, -1, v36, s[60:61]               // LDD clip if OOB. offset
/* (d1,vc1,d0,vc0)=(2,0,0,0) */
_v_add_co_u32 v1, vcc, v1, 5                       // coord1.1: coord1Vgpr += d1*sg1*VW + vc1

/* Fix for UseInitialStridesCD, emitAddressSetupCode */
s_mul_i32 s56, s[sgprStrideC1J], 5                 // scale stride
_v_add_u32 v2, v2, s56                             // ROWINC- Move cinRowPtr to next row
s_mul_i32 s56, s[sgprStrideD1J], 5                 // scale stride
_v_add_u32 v3, v3, s56                             // Move coutRowPtr to next row
v_cmp_lt_u32 s[56:57], v0, s[sgprSizeI]            // coord0 < size0
v_cmp_lt_u32 s[60:61], v1, s[sgprSizeJ]            // coord1 < size1
s_and_b64 s[60:61], s[56:57], s[60:61]             // in0 && in1
_v_add_lshl_u32 v38, v3, v0, 0x2                   // scaleToBpe: accumulate d0 lower and *= bpe into Cin addr
v_cndmask_b32 v38, -1, v38, s[60:61]               // LDD clip if OOB. offset
/* (d1,vc1,d0,vc0)=(2,0,1,0) */
_v_add_co_u32 v4, vcc, v0, 64                      // coord0.1: coord0 += d0*sg0*VW + vc0
v_cmp_lt_u32 s[56:57], v4, s[sgprSizeI]            // coord0 < size0
v_cmp_lt_u32 s[60:61], v1, s[sgprSizeJ]            // coord1 < size1
s_and_b64 s[60:61], s[56:57], s[60:61]             // in0 && in1
_v_add_lshl_u32 v40, v3, v4, 0x2                   // scaleToBpe: accumulate d0 lower and *= bpe into Cin addr
v_cndmask_b32 v40, -1, v40, s[60:61]               // LDD clip if OOB. offset
/* (d1,vc1,d0,vc0)=(2,1,0,0) */
_v_add_co_u32 v1, vcc, v1, 1                       // coord1.1: coord1Vgpr += d1*sg1*VW + vc1

/* Fix for UseInitialStridesCD, emitAddressSetupCode */
_v_add_u32 v2, v2, s[sgprStrideC1J]                // ROWINC- Move cinRowPtr to next row
_v_add_u32 v3, v3, s[sgprStrideD1J]                // Move coutRowPtr to next row
v_cmp_lt_u32 s[56:57], v0, s[sgprSizeI]            // coord0 < size0
v_cmp_lt_u32 s[60:61], v1, s[sgprSizeJ]            // coord1 < size1
s_and_b64 s[60:61], s[56:57], s[60:61]             // in0 && in1
_v_add_lshl_u32 v42, v3, v0, 0x2                   // scaleToBpe: accumulate d0 lower and *= bpe into Cin addr
v_cndmask_b32 v42, -1, v42, s[60:61]               // LDD clip if OOB. offset
/* (d1,vc1,d0,vc0)=(2,1,1,0) */
_v_add_co_u32 v4, vcc, v0, 64                      // coord0.1: coord0 += d0*sg0*VW + vc0
v_cmp_lt_u32 s[56:57], v4, s[sgprSizeI]            // coord0 < size0
v_cmp_lt_u32 s[60:61], v1, s[sgprSizeJ]            // coord1 < size1
s_and_b64 s[60:61], s[56:57], s[60:61]             // in0 && in1
_v_add_lshl_u32 v44, v3, v4, 0x2                   // scaleToBpe: accumulate d0 lower and *= bpe into Cin addr
v_cndmask_b32 v44, -1, v44, s[60:61]               // LDD clip if OOB. offset
/* (d1,vc1,d0,vc0)=(2,2,0,0) */
_v_add_co_u32 v1, vcc, v1, 1                       // coord1.1: coord1Vgpr += d1*sg1*VW + vc1

/* Fix for UseInitialStridesCD, emitAddressSetupCode */
_v_add_u32 v2, v2, s[sgprStrideC1J]                // ROWINC- Move cinRowPtr to next row
_v_add_u32 v3, v3, s[sgprStrideD1J]                // Move coutRowPtr to next row
	;; [unrolled: 18-line block ×3, first 2 shown]
v_cmp_lt_u32 s[56:57], v0, s[sgprSizeI]            // coord0 < size0
v_cmp_lt_u32 s[60:61], v1, s[sgprSizeJ]            // coord1 < size1
s_and_b64 s[60:61], s[56:57], s[60:61]             // in0 && in1
_v_add_lshl_u32 v50, v3, v0, 0x2                   // scaleToBpe: accumulate d0 lower and *= bpe into Cin addr
v_cndmask_b32 v50, -1, v50, s[60:61]               // LDD clip if OOB. offset
/* (d1,vc1,d0,vc0)=(2,3,1,0) */
_v_add_co_u32 v4, vcc, v0, 64                      // coord0.1: coord0 += d0*sg0*VW + vc0
v_cmp_lt_u32 s[56:57], v4, s[sgprSizeI]            // coord0 < size0
v_cmp_lt_u32 s[60:61], v1, s[sgprSizeJ]            // coord1 < size1
s_and_b64 s[60:61], s[56:57], s[60:61]             // in0 && in1
_v_add_lshl_u32 v52, v3, v4, 0x2                   // scaleToBpe: accumulate d0 lower and *= bpe into Cin addr
v_cndmask_b32 v52, -1, v52, s[60:61]               // LDD clip if OOB. offset
/* (d1,vc1,d0,vc0)=(3,0,0,0) */
_v_add_co_u32 v1, vcc, v1, 5                       // coord1.1: coord1Vgpr += d1*sg1*VW + vc1

/* Fix for UseInitialStridesCD, emitAddressSetupCode */
s_mul_i32 s56, s[sgprStrideC1J], 5                 // scale stride
_v_add_u32 v2, v2, s56                             // ROWINC- Move cinRowPtr to next row
s_mul_i32 s56, s[sgprStrideD1J], 5                 // scale stride
_v_add_u32 v3, v3, s56                             // Move coutRowPtr to next row
v_cmp_lt_u32 s[56:57], v0, s[sgprSizeI]            // coord0 < size0
v_cmp_lt_u32 s[60:61], v1, s[sgprSizeJ]            // coord1 < size1
s_and_b64 s[60:61], s[56:57], s[60:61]             // in0 && in1
_v_add_lshl_u32 v54, v3, v0, 0x2                   // scaleToBpe: accumulate d0 lower and *= bpe into Cin addr
v_cndmask_b32 v54, -1, v54, s[60:61]               // LDD clip if OOB. offset
/* (d1,vc1,d0,vc0)=(3,0,1,0) */
_v_add_co_u32 v4, vcc, v0, 64                      // coord0.1: coord0 += d0*sg0*VW + vc0
v_cmp_lt_u32 s[56:57], v4, s[sgprSizeI]            // coord0 < size0
v_cmp_lt_u32 s[60:61], v1, s[sgprSizeJ]            // coord1 < size1
s_and_b64 s[60:61], s[56:57], s[60:61]             // in0 && in1
_v_add_lshl_u32 v56, v3, v4, 0x2                   // scaleToBpe: accumulate d0 lower and *= bpe into Cin addr
v_cndmask_b32 v56, -1, v56, s[60:61]               // LDD clip if OOB. offset
/* (d1,vc1,d0,vc0)=(3,1,0,0) */
_v_add_co_u32 v1, vcc, v1, 1                       // coord1.1: coord1Vgpr += d1*sg1*VW + vc1

/* Fix for UseInitialStridesCD, emitAddressSetupCode */
_v_add_u32 v2, v2, s[sgprStrideC1J]                // ROWINC- Move cinRowPtr to next row
_v_add_u32 v3, v3, s[sgprStrideD1J]                // Move coutRowPtr to next row
v_cmp_lt_u32 s[56:57], v0, s[sgprSizeI]            // coord0 < size0
v_cmp_lt_u32 s[60:61], v1, s[sgprSizeJ]            // coord1 < size1
s_and_b64 s[60:61], s[56:57], s[60:61]             // in0 && in1
_v_add_lshl_u32 v58, v3, v0, 0x2                   // scaleToBpe: accumulate d0 lower and *= bpe into Cin addr
v_cndmask_b32 v58, -1, v58, s[60:61]               // LDD clip if OOB. offset
/* (d1,vc1,d0,vc0)=(3,1,1,0) */
_v_add_co_u32 v4, vcc, v0, 64                      // coord0.1: coord0 += d0*sg0*VW + vc0
v_cmp_lt_u32 s[56:57], v4, s[sgprSizeI]            // coord0 < size0
v_cmp_lt_u32 s[60:61], v1, s[sgprSizeJ]            // coord1 < size1
s_and_b64 s[60:61], s[56:57], s[60:61]             // in0 && in1
_v_add_lshl_u32 v60, v3, v4, 0x2                   // scaleToBpe: accumulate d0 lower and *= bpe into Cin addr
v_cndmask_b32 v60, -1, v60, s[60:61]               // LDD clip if OOB. offset
/* (d1,vc1,d0,vc0)=(3,2,0,0) */
_v_add_co_u32 v1, vcc, v1, 1                       // coord1.1: coord1Vgpr += d1*sg1*VW + vc1

/* Fix for UseInitialStridesCD, emitAddressSetupCode */
_v_add_u32 v2, v2, s[sgprStrideC1J]                // ROWINC- Move cinRowPtr to next row
_v_add_u32 v3, v3, s[sgprStrideD1J]                // Move coutRowPtr to next row
	;; [unrolled: 18-line block ×3, first 2 shown]
v_cmp_lt_u32 s[56:57], v0, s[sgprSizeI]            // coord0 < size0
v_cmp_lt_u32 s[60:61], v1, s[sgprSizeJ]            // coord1 < size1
s_and_b64 s[60:61], s[56:57], s[60:61]             // in0 && in1
_v_add_lshl_u32 v66, v3, v0, 0x2                   // scaleToBpe: accumulate d0 lower and *= bpe into Cin addr
v_cndmask_b32 v66, -1, v66, s[60:61]               // LDD clip if OOB. offset
/* (d1,vc1,d0,vc0)=(3,3,1,0) */
_v_add_co_u32 v4, vcc, v0, 64                      // coord0.1: coord0 += d0*sg0*VW + vc0
v_cmp_lt_u32 s[56:57], v4, s[sgprSizeI]            // coord0 < size0
v_cmp_lt_u32 s[60:61], v1, s[sgprSizeJ]            // coord1 < size1
s_and_b64 s[60:61], s[56:57], s[60:61]             // in0 && in1
_v_add_lshl_u32 v68, v3, v4, 0x2                   // scaleToBpe: accumulate d0 lower and *= bpe into Cin addr
v_cndmask_b32 v68, -1, v68, s[60:61]               // LDD clip if OOB. offset
/* (d1,vc1,d0,vc0)=(4,0,0,0) */
_v_add_co_u32 v1, vcc, v1, 37                      // coord1.1: coord1Vgpr += d1*sg1*VW + vc1

/* Fix for UseInitialStridesCD, emitAddressSetupCode */
s_mul_i32 s56, s[sgprStrideC1J], 37                // scale stride
_v_add_u32 v2, v2, s56                             // ROWINC- Move cinRowPtr to next row
s_mul_i32 s56, s[sgprStrideD1J], 37                // scale stride
_v_add_u32 v3, v3, s56                             // Move coutRowPtr to next row
v_cmp_lt_u32 s[56:57], v0, s[sgprSizeI]            // coord0 < size0
v_cmp_lt_u32 s[60:61], v1, s[sgprSizeJ]            // coord1 < size1
s_and_b64 s[60:61], s[56:57], s[60:61]             // in0 && in1
_v_add_lshl_u32 v70, v3, v0, 0x2                   // scaleToBpe: accumulate d0 lower and *= bpe into Cin addr
v_cndmask_b32 v70, -1, v70, s[60:61]               // LDD clip if OOB. offset
/* (d1,vc1,d0,vc0)=(4,0,1,0) */
_v_add_co_u32 v4, vcc, v0, 64                      // coord0.1: coord0 += d0*sg0*VW + vc0
v_cmp_lt_u32 s[56:57], v4, s[sgprSizeI]            // coord0 < size0
v_cmp_lt_u32 s[60:61], v1, s[sgprSizeJ]            // coord1 < size1
s_and_b64 s[60:61], s[56:57], s[60:61]             // in0 && in1
_v_add_lshl_u32 v78, v3, v4, 0x2                   // scaleToBpe: accumulate d0 lower and *= bpe into Cin addr
v_cndmask_b32 v78, -1, v78, s[60:61]               // LDD clip if OOB. offset
/* (d1,vc1,d0,vc0)=(4,1,0,0) */
_v_add_co_u32 v1, vcc, v1, 1                       // coord1.1: coord1Vgpr += d1*sg1*VW + vc1

/* Fix for UseInitialStridesCD, emitAddressSetupCode */
_v_add_u32 v2, v2, s[sgprStrideC1J]                // ROWINC- Move cinRowPtr to next row
_v_add_u32 v3, v3, s[sgprStrideD1J]                // Move coutRowPtr to next row
v_cmp_lt_u32 s[56:57], v0, s[sgprSizeI]            // coord0 < size0
v_cmp_lt_u32 s[60:61], v1, s[sgprSizeJ]            // coord1 < size1
s_and_b64 s[60:61], s[56:57], s[60:61]             // in0 && in1
_v_add_lshl_u32 v80, v3, v0, 0x2                   // scaleToBpe: accumulate d0 lower and *= bpe into Cin addr
v_cndmask_b32 v80, -1, v80, s[60:61]               // LDD clip if OOB. offset
/* (d1,vc1,d0,vc0)=(4,1,1,0) */
_v_add_co_u32 v4, vcc, v0, 64                      // coord0.1: coord0 += d0*sg0*VW + vc0
v_cmp_lt_u32 s[56:57], v4, s[sgprSizeI]            // coord0 < size0
v_cmp_lt_u32 s[60:61], v1, s[sgprSizeJ]            // coord1 < size1
s_and_b64 s[60:61], s[56:57], s[60:61]             // in0 && in1
_v_add_lshl_u32 v82, v3, v4, 0x2                   // scaleToBpe: accumulate d0 lower and *= bpe into Cin addr
v_cndmask_b32 v82, -1, v82, s[60:61]               // LDD clip if OOB. offset
/* (d1,vc1,d0,vc0)=(4,2,0,0) */
_v_add_co_u32 v1, vcc, v1, 1                       // coord1.1: coord1Vgpr += d1*sg1*VW + vc1

/* Fix for UseInitialStridesCD, emitAddressSetupCode */
_v_add_u32 v2, v2, s[sgprStrideC1J]                // ROWINC- Move cinRowPtr to next row
_v_add_u32 v3, v3, s[sgprStrideD1J]                // Move coutRowPtr to next row
	;; [unrolled: 18-line block ×3, first 2 shown]
v_cmp_lt_u32 s[56:57], v0, s[sgprSizeI]            // coord0 < size0
v_cmp_lt_u32 s[60:61], v1, s[sgprSizeJ]            // coord1 < size1
s_and_b64 s[60:61], s[56:57], s[60:61]             // in0 && in1
_v_add_lshl_u32 v88, v3, v0, 0x2                   // scaleToBpe: accumulate d0 lower and *= bpe into Cin addr
v_cndmask_b32 v88, -1, v88, s[60:61]               // LDD clip if OOB. offset
/* (d1,vc1,d0,vc0)=(4,3,1,0) */
_v_add_co_u32 v4, vcc, v0, 64                      // coord0.1: coord0 += d0*sg0*VW + vc0
v_cmp_lt_u32 s[56:57], v4, s[sgprSizeI]            // coord0 < size0
v_cmp_lt_u32 s[60:61], v1, s[sgprSizeJ]            // coord1 < size1
s_and_b64 s[60:61], s[56:57], s[60:61]             // in0 && in1
_v_add_lshl_u32 v90, v3, v4, 0x2                   // scaleToBpe: accumulate d0 lower and *= bpe into Cin addr
v_cndmask_b32 v90, -1, v90, s[60:61]               // LDD clip if OOB. offset
/* (d1,vc1,d0,vc0)=(5,0,0,0) */
_v_add_co_u32 v1, vcc, v1, 5                       // coord1.1: coord1Vgpr += d1*sg1*VW + vc1

/* Fix for UseInitialStridesCD, emitAddressSetupCode */
s_mul_i32 s56, s[sgprStrideC1J], 5                 // scale stride
_v_add_u32 v2, v2, s56                             // ROWINC- Move cinRowPtr to next row
s_mul_i32 s56, s[sgprStrideD1J], 5                 // scale stride
_v_add_u32 v3, v3, s56                             // Move coutRowPtr to next row
v_cmp_lt_u32 s[56:57], v0, s[sgprSizeI]            // coord0 < size0
v_cmp_lt_u32 s[60:61], v1, s[sgprSizeJ]            // coord1 < size1
s_and_b64 s[60:61], s[56:57], s[60:61]             // in0 && in1
_v_add_lshl_u32 v92, v3, v0, 0x2                   // scaleToBpe: accumulate d0 lower and *= bpe into Cin addr
v_cndmask_b32 v92, -1, v92, s[60:61]               // LDD clip if OOB. offset
/* (d1,vc1,d0,vc0)=(5,0,1,0) */
_v_add_co_u32 v4, vcc, v0, 64                      // coord0.1: coord0 += d0*sg0*VW + vc0
v_cmp_lt_u32 s[56:57], v4, s[sgprSizeI]            // coord0 < size0
v_cmp_lt_u32 s[60:61], v1, s[sgprSizeJ]            // coord1 < size1
s_and_b64 s[60:61], s[56:57], s[60:61]             // in0 && in1
_v_add_lshl_u32 v94, v3, v4, 0x2                   // scaleToBpe: accumulate d0 lower and *= bpe into Cin addr
v_cndmask_b32 v94, -1, v94, s[60:61]               // LDD clip if OOB. offset
/* (d1,vc1,d0,vc0)=(5,1,0,0) */
_v_add_co_u32 v1, vcc, v1, 1                       // coord1.1: coord1Vgpr += d1*sg1*VW + vc1

/* Fix for UseInitialStridesCD, emitAddressSetupCode */
_v_add_u32 v2, v2, s[sgprStrideC1J]                // ROWINC- Move cinRowPtr to next row
_v_add_u32 v3, v3, s[sgprStrideD1J]                // Move coutRowPtr to next row
v_cmp_lt_u32 s[56:57], v0, s[sgprSizeI]            // coord0 < size0
v_cmp_lt_u32 s[60:61], v1, s[sgprSizeJ]            // coord1 < size1
s_and_b64 s[60:61], s[56:57], s[60:61]             // in0 && in1
_v_add_lshl_u32 v96, v3, v0, 0x2                   // scaleToBpe: accumulate d0 lower and *= bpe into Cin addr
v_cndmask_b32 v96, -1, v96, s[60:61]               // LDD clip if OOB. offset
/* (d1,vc1,d0,vc0)=(5,1,1,0) */
_v_add_co_u32 v4, vcc, v0, 64                      // coord0.1: coord0 += d0*sg0*VW + vc0
v_cmp_lt_u32 s[56:57], v4, s[sgprSizeI]            // coord0 < size0
v_cmp_lt_u32 s[60:61], v1, s[sgprSizeJ]            // coord1 < size1
s_and_b64 s[60:61], s[56:57], s[60:61]             // in0 && in1
_v_add_lshl_u32 v98, v3, v4, 0x2                   // scaleToBpe: accumulate d0 lower and *= bpe into Cin addr
v_cndmask_b32 v98, -1, v98, s[60:61]               // LDD clip if OOB. offset
/* (d1,vc1,d0,vc0)=(5,2,0,0) */
_v_add_co_u32 v1, vcc, v1, 1                       // coord1.1: coord1Vgpr += d1*sg1*VW + vc1

/* Fix for UseInitialStridesCD, emitAddressSetupCode */
_v_add_u32 v2, v2, s[sgprStrideC1J]                // ROWINC- Move cinRowPtr to next row
_v_add_u32 v3, v3, s[sgprStrideD1J]                // Move coutRowPtr to next row
v_cmp_lt_u32 s[56:57], v0, s[sgprSizeI]            // coord0 < size0
v_cmp_lt_u32 s[60:61], v1, s[sgprSizeJ]            // coord1 < size1
s_and_b64 s[60:61], s[56:57], s[60:61]             // in0 && in1
_v_add_lshl_u32 v100, v3, v0, 0x2                  // scaleToBpe: accumulate d0 lower and *= bpe into Cin addr
v_cndmask_b32 v100, -1, v100, s[60:61]             // LDD clip if OOB. offset
/* (d1,vc1,d0,vc0)=(5,2,1,0) */
_v_add_co_u32 v4, vcc, v0, 64                      // coord0.1: coord0 += d0*sg0*VW + vc0
v_cmp_lt_u32 s[56:57], v4, s[sgprSizeI]            // coord0 < size0
v_cmp_lt_u32 s[60:61], v1, s[sgprSizeJ]            // coord1 < size1
s_and_b64 s[60:61], s[56:57], s[60:61]             // in0 && in1
_v_add_lshl_u32 v102, v3, v4, 0x2                  // scaleToBpe: accumulate d0 lower and *= bpe into Cin addr
v_cndmask_b32 v102, -1, v102, s[60:61]             // LDD clip if OOB. offset
/* (d1,vc1,d0,vc0)=(5,3,0,0) */
_v_add_co_u32 v1, vcc, v1, 1                       // coord1.1: coord1Vgpr += d1*sg1*VW + vc1

/* Fix for UseInitialStridesCD, emitAddressSetupCode */
_v_add_u32 v2, v2, s[sgprStrideC1J]                // ROWINC- Move cinRowPtr to next row
_v_add_u32 v3, v3, s[sgprStrideD1J]                // Move coutRowPtr to next row
v_cmp_lt_u32 s[56:57], v0, s[sgprSizeI]            // coord0 < size0
v_cmp_lt_u32 s[60:61], v1, s[sgprSizeJ]            // coord1 < size1
s_and_b64 s[60:61], s[56:57], s[60:61]             // in0 && in1
_v_add_lshl_u32 v104, v3, v0, 0x2                  // scaleToBpe: accumulate d0 lower and *= bpe into Cin addr
v_cndmask_b32 v104, -1, v104, s[60:61]             // LDD clip if OOB. offset
/* (d1,vc1,d0,vc0)=(5,3,1,0) */
_v_add_co_u32 v4, vcc, v0, 64                      // coord0.1: coord0 += d0*sg0*VW + vc0
v_cmp_lt_u32 s[56:57], v4, s[sgprSizeI]            // coord0 < size0
v_cmp_lt_u32 s[60:61], v1, s[sgprSizeJ]            // coord1 < size1
s_and_b64 s[60:61], s[56:57], s[60:61]             // in0 && in1
_v_add_lshl_u32 v106, v3, v4, 0x2                  // scaleToBpe: accumulate d0 lower and *= bpe into Cin addr
v_cndmask_b32 v106, -1, v106, s[60:61]             // LDD clip if OOB. offset
/* (d1,vc1,d0,vc0)=(6,0,0,0) */
_v_add_co_u32 v1, vcc, v1, 5                       // coord1.1: coord1Vgpr += d1*sg1*VW + vc1

/* Fix for UseInitialStridesCD, emitAddressSetupCode */
s_mul_i32 s56, s[sgprStrideC1J], 5                 // scale stride
_v_add_u32 v2, v2, s56                             // ROWINC- Move cinRowPtr to next row
s_mul_i32 s56, s[sgprStrideD1J], 5                 // scale stride
_v_add_u32 v3, v3, s56                             // Move coutRowPtr to next row
v_cmp_lt_u32 s[56:57], v0, s[sgprSizeI]            // coord0 < size0
v_cmp_lt_u32 s[60:61], v1, s[sgprSizeJ]            // coord1 < size1
s_and_b64 s[60:61], s[56:57], s[60:61]             // in0 && in1
_v_add_lshl_u32 v108, v3, v0, 0x2                  // scaleToBpe: accumulate d0 lower and *= bpe into Cin addr
v_cndmask_b32 v108, -1, v108, s[60:61]             // LDD clip if OOB. offset
/* (d1,vc1,d0,vc0)=(6,0,1,0) */
_v_add_co_u32 v4, vcc, v0, 64                      // coord0.1: coord0 += d0*sg0*VW + vc0
v_cmp_lt_u32 s[56:57], v4, s[sgprSizeI]            // coord0 < size0
v_cmp_lt_u32 s[60:61], v1, s[sgprSizeJ]            // coord1 < size1
s_and_b64 s[60:61], s[56:57], s[60:61]             // in0 && in1
_v_add_lshl_u32 v110, v3, v4, 0x2                  // scaleToBpe: accumulate d0 lower and *= bpe into Cin addr
v_cndmask_b32 v110, -1, v110, s[60:61]             // LDD clip if OOB. offset
/* (d1,vc1,d0,vc0)=(6,1,0,0) */
_v_add_co_u32 v1, vcc, v1, 1                       // coord1.1: coord1Vgpr += d1*sg1*VW + vc1

/* Fix for UseInitialStridesCD, emitAddressSetupCode */
_v_add_u32 v2, v2, s[sgprStrideC1J]                // ROWINC- Move cinRowPtr to next row
_v_add_u32 v3, v3, s[sgprStrideD1J]                // Move coutRowPtr to next row
v_cmp_lt_u32 s[56:57], v0, s[sgprSizeI]            // coord0 < size0
v_cmp_lt_u32 s[60:61], v1, s[sgprSizeJ]            // coord1 < size1
s_and_b64 s[60:61], s[56:57], s[60:61]             // in0 && in1
_v_add_lshl_u32 v112, v3, v0, 0x2                  // scaleToBpe: accumulate d0 lower and *= bpe into Cin addr
v_cndmask_b32 v112, -1, v112, s[60:61]             // LDD clip if OOB. offset
/* (d1,vc1,d0,vc0)=(6,1,1,0) */
_v_add_co_u32 v4, vcc, v0, 64                      // coord0.1: coord0 += d0*sg0*VW + vc0
v_cmp_lt_u32 s[56:57], v4, s[sgprSizeI]            // coord0 < size0
v_cmp_lt_u32 s[60:61], v1, s[sgprSizeJ]            // coord1 < size1
s_and_b64 s[60:61], s[56:57], s[60:61]             // in0 && in1
_v_add_lshl_u32 v114, v3, v4, 0x2                  // scaleToBpe: accumulate d0 lower and *= bpe into Cin addr
v_cndmask_b32 v114, -1, v114, s[60:61]             // LDD clip if OOB. offset
/* (d1,vc1,d0,vc0)=(6,2,0,0) */
_v_add_co_u32 v1, vcc, v1, 1                       // coord1.1: coord1Vgpr += d1*sg1*VW + vc1

/* Fix for UseInitialStridesCD, emitAddressSetupCode */
_v_add_u32 v2, v2, s[sgprStrideC1J]                // ROWINC- Move cinRowPtr to next row
_v_add_u32 v3, v3, s[sgprStrideD1J]                // Move coutRowPtr to next row
	;; [unrolled: 18-line block ×3, first 2 shown]
v_cmp_lt_u32 s[56:57], v0, s[sgprSizeI]            // coord0 < size0
v_cmp_lt_u32 s[60:61], v1, s[sgprSizeJ]            // coord1 < size1
s_and_b64 s[60:61], s[56:57], s[60:61]             // in0 && in1
_v_add_lshl_u32 v120, v3, v0, 0x2                  // scaleToBpe: accumulate d0 lower and *= bpe into Cin addr
v_cndmask_b32 v120, -1, v120, s[60:61]             // LDD clip if OOB. offset
/* (d1,vc1,d0,vc0)=(6,3,1,0) */
_v_add_co_u32 v4, vcc, v0, 64                      // coord0.1: coord0 += d0*sg0*VW + vc0
v_cmp_lt_u32 s[56:57], v4, s[sgprSizeI]            // coord0 < size0
v_cmp_lt_u32 s[60:61], v1, s[sgprSizeJ]            // coord1 < size1
s_and_b64 s[60:61], s[56:57], s[60:61]             // in0 && in1
_v_add_lshl_u32 v122, v3, v4, 0x2                  // scaleToBpe: accumulate d0 lower and *= bpe into Cin addr
v_cndmask_b32 v122, -1, v122, s[60:61]             // LDD clip if OOB. offset
/* (d1,vc1,d0,vc0)=(7,0,0,0) */
_v_add_co_u32 v1, vcc, v1, 5                       // coord1.1: coord1Vgpr += d1*sg1*VW + vc1

/* Fix for UseInitialStridesCD, emitAddressSetupCode */
s_mul_i32 s56, s[sgprStrideC1J], 5                 // scale stride
_v_add_u32 v2, v2, s56                             // ROWINC- Move cinRowPtr to next row
s_mul_i32 s56, s[sgprStrideD1J], 5                 // scale stride
_v_add_u32 v3, v3, s56                             // Move coutRowPtr to next row
v_cmp_lt_u32 s[56:57], v0, s[sgprSizeI]            // coord0 < size0
v_cmp_lt_u32 s[60:61], v1, s[sgprSizeJ]            // coord1 < size1
s_and_b64 s[60:61], s[56:57], s[60:61]             // in0 && in1
_v_add_lshl_u32 v124, v3, v0, 0x2                  // scaleToBpe: accumulate d0 lower and *= bpe into Cin addr
v_cndmask_b32 v124, -1, v124, s[60:61]             // LDD clip if OOB. offset
/* (d1,vc1,d0,vc0)=(7,0,1,0) */
_v_add_co_u32 v4, vcc, v0, 64                      // coord0.1: coord0 += d0*sg0*VW + vc0
v_cmp_lt_u32 s[56:57], v4, s[sgprSizeI]            // coord0 < size0
v_cmp_lt_u32 s[60:61], v1, s[sgprSizeJ]            // coord1 < size1
s_and_b64 s[60:61], s[56:57], s[60:61]             // in0 && in1
_v_add_lshl_u32 v126, v3, v4, 0x2                  // scaleToBpe: accumulate d0 lower and *= bpe into Cin addr
v_cndmask_b32 v126, -1, v126, s[60:61]             // LDD clip if OOB. offset
/* (d1,vc1,d0,vc0)=(7,1,0,0) */
_v_add_co_u32 v1, vcc, v1, 1                       // coord1.1: coord1Vgpr += d1*sg1*VW + vc1

/* Fix for UseInitialStridesCD, emitAddressSetupCode */
_v_add_u32 v2, v2, s[sgprStrideC1J]                // ROWINC- Move cinRowPtr to next row
_v_add_u32 v3, v3, s[sgprStrideD1J]                // Move coutRowPtr to next row
v_cmp_lt_u32 s[56:57], v0, s[sgprSizeI]            // coord0 < size0
v_cmp_lt_u32 s[60:61], v1, s[sgprSizeJ]            // coord1 < size1
s_and_b64 s[60:61], s[56:57], s[60:61]             // in0 && in1
_v_add_lshl_u32 v128, v3, v0, 0x2                  // scaleToBpe: accumulate d0 lower and *= bpe into Cin addr
v_cndmask_b32 v128, -1, v128, s[60:61]             // LDD clip if OOB. offset
/* (d1,vc1,d0,vc0)=(7,1,1,0) */
_v_add_co_u32 v4, vcc, v0, 64                      // coord0.1: coord0 += d0*sg0*VW + vc0
v_cmp_lt_u32 s[56:57], v4, s[sgprSizeI]            // coord0 < size0
v_cmp_lt_u32 s[60:61], v1, s[sgprSizeJ]            // coord1 < size1
s_and_b64 s[60:61], s[56:57], s[60:61]             // in0 && in1
_v_add_lshl_u32 v130, v3, v4, 0x2                  // scaleToBpe: accumulate d0 lower and *= bpe into Cin addr
v_cndmask_b32 v130, -1, v130, s[60:61]             // LDD clip if OOB. offset
/* (d1,vc1,d0,vc0)=(7,2,0,0) */
_v_add_co_u32 v1, vcc, v1, 1                       // coord1.1: coord1Vgpr += d1*sg1*VW + vc1

/* Fix for UseInitialStridesCD, emitAddressSetupCode */
_v_add_u32 v2, v2, s[sgprStrideC1J]                // ROWINC- Move cinRowPtr to next row
_v_add_u32 v3, v3, s[sgprStrideD1J]                // Move coutRowPtr to next row
	;; [unrolled: 18-line block ×3, first 2 shown]
v_cmp_lt_u32 s[56:57], v0, s[sgprSizeI]            // coord0 < size0
v_cmp_lt_u32 s[60:61], v1, s[sgprSizeJ]            // coord1 < size1
s_and_b64 s[60:61], s[56:57], s[60:61]             // in0 && in1
_v_add_lshl_u32 v136, v3, v0, 0x2                  // scaleToBpe: accumulate d0 lower and *= bpe into Cin addr
v_cndmask_b32 v136, -1, v136, s[60:61]             // LDD clip if OOB. offset
/* (d1,vc1,d0,vc0)=(7,3,1,0) */
_v_add_co_u32 v4, vcc, v0, 64                      // coord0.1: coord0 += d0*sg0*VW + vc0
v_cmp_lt_u32 s[56:57], v4, s[sgprSizeI]            // coord0 < size0
v_cmp_lt_u32 s[60:61], v1, s[sgprSizeJ]            // coord1 < size1
s_and_b64 s[60:61], s[56:57], s[60:61]             // in0 && in1
_v_add_lshl_u32 v138, v3, v4, 0x2                  // scaleToBpe: accumulate d0 lower and *= bpe into Cin addr
v_cndmask_b32 v138, -1, v138, s[60:61]             // LDD clip if OOB. offset
/* (d1,vc1,d0,vc0)=(8,0,0,0) */
_v_add_co_u32 v1, vcc, v1, 37                      // coord1.1: coord1Vgpr += d1*sg1*VW + vc1

/* Fix for UseInitialStridesCD, emitAddressSetupCode */
s_mul_i32 s56, s[sgprStrideC1J], 37                // scale stride
_v_add_u32 v2, v2, s56                             // ROWINC- Move cinRowPtr to next row
s_mul_i32 s56, s[sgprStrideD1J], 37                // scale stride
_v_add_u32 v3, v3, s56                             // Move coutRowPtr to next row
v_cmp_lt_u32 s[56:57], v0, s[sgprSizeI]            // coord0 < size0
v_cmp_lt_u32 s[60:61], v1, s[sgprSizeJ]            // coord1 < size1
s_and_b64 s[60:61], s[56:57], s[60:61]             // in0 && in1
_v_add_lshl_u32 v140, v3, v0, 0x2                  // scaleToBpe: accumulate d0 lower and *= bpe into Cin addr
v_cndmask_b32 v140, -1, v140, s[60:61]             // LDD clip if OOB. offset
/* (d1,vc1,d0,vc0)=(8,0,1,0) */
_v_add_co_u32 v4, vcc, v0, 64                      // coord0.1: coord0 += d0*sg0*VW + vc0
v_cmp_lt_u32 s[56:57], v4, s[sgprSizeI]            // coord0 < size0
v_cmp_lt_u32 s[60:61], v1, s[sgprSizeJ]            // coord1 < size1
s_and_b64 s[60:61], s[56:57], s[60:61]             // in0 && in1
_v_add_lshl_u32 v142, v3, v4, 0x2                  // scaleToBpe: accumulate d0 lower and *= bpe into Cin addr
v_cndmask_b32 v142, -1, v142, s[60:61]             // LDD clip if OOB. offset
/* (d1,vc1,d0,vc0)=(8,1,0,0) */
_v_add_co_u32 v1, vcc, v1, 1                       // coord1.1: coord1Vgpr += d1*sg1*VW + vc1

/* Fix for UseInitialStridesCD, emitAddressSetupCode */
_v_add_u32 v2, v2, s[sgprStrideC1J]                // ROWINC- Move cinRowPtr to next row
_v_add_u32 v3, v3, s[sgprStrideD1J]                // Move coutRowPtr to next row
v_cmp_lt_u32 s[56:57], v0, s[sgprSizeI]            // coord0 < size0
v_cmp_lt_u32 s[60:61], v1, s[sgprSizeJ]            // coord1 < size1
s_and_b64 s[60:61], s[56:57], s[60:61]             // in0 && in1
_v_add_lshl_u32 v144, v3, v0, 0x2                  // scaleToBpe: accumulate d0 lower and *= bpe into Cin addr
v_cndmask_b32 v144, -1, v144, s[60:61]             // LDD clip if OOB. offset
/* (d1,vc1,d0,vc0)=(8,1,1,0) */
_v_add_co_u32 v4, vcc, v0, 64                      // coord0.1: coord0 += d0*sg0*VW + vc0
v_cmp_lt_u32 s[56:57], v4, s[sgprSizeI]            // coord0 < size0
v_cmp_lt_u32 s[60:61], v1, s[sgprSizeJ]            // coord1 < size1
s_and_b64 s[60:61], s[56:57], s[60:61]             // in0 && in1
_v_add_lshl_u32 v146, v3, v4, 0x2                  // scaleToBpe: accumulate d0 lower and *= bpe into Cin addr
v_cndmask_b32 v146, -1, v146, s[60:61]             // LDD clip if OOB. offset
/* (d1,vc1,d0,vc0)=(8,2,0,0) */
_v_add_co_u32 v1, vcc, v1, 1                       // coord1.1: coord1Vgpr += d1*sg1*VW + vc1

/* Fix for UseInitialStridesCD, emitAddressSetupCode */
_v_add_u32 v2, v2, s[sgprStrideC1J]                // ROWINC- Move cinRowPtr to next row
_v_add_u32 v3, v3, s[sgprStrideD1J]                // Move coutRowPtr to next row
	;; [unrolled: 18-line block ×3, first 2 shown]
v_cmp_lt_u32 s[56:57], v0, s[sgprSizeI]            // coord0 < size0
v_cmp_lt_u32 s[60:61], v1, s[sgprSizeJ]            // coord1 < size1
s_and_b64 s[60:61], s[56:57], s[60:61]             // in0 && in1
_v_add_lshl_u32 v152, v3, v0, 0x2                  // scaleToBpe: accumulate d0 lower and *= bpe into Cin addr
v_cndmask_b32 v152, -1, v152, s[60:61]             // LDD clip if OOB. offset
/* (d1,vc1,d0,vc0)=(8,3,1,0) */
_v_add_co_u32 v4, vcc, v0, 64                      // coord0.1: coord0 += d0*sg0*VW + vc0
v_cmp_lt_u32 s[56:57], v4, s[sgprSizeI]            // coord0 < size0
v_cmp_lt_u32 s[60:61], v1, s[sgprSizeJ]            // coord1 < size1
s_and_b64 s[60:61], s[56:57], s[60:61]             // in0 && in1
_v_add_lshl_u32 v154, v3, v4, 0x2                  // scaleToBpe: accumulate d0 lower and *= bpe into Cin addr
v_cndmask_b32 v154, -1, v154, s[60:61]             // LDD clip if OOB. offset
/* (d1,vc1,d0,vc0)=(9,0,0,0) */
_v_add_co_u32 v1, vcc, v1, 5                       // coord1.1: coord1Vgpr += d1*sg1*VW + vc1

/* Fix for UseInitialStridesCD, emitAddressSetupCode */
s_mul_i32 s56, s[sgprStrideC1J], 5                 // scale stride
_v_add_u32 v2, v2, s56                             // ROWINC- Move cinRowPtr to next row
s_mul_i32 s56, s[sgprStrideD1J], 5                 // scale stride
_v_add_u32 v3, v3, s56                             // Move coutRowPtr to next row
v_cmp_lt_u32 s[56:57], v0, s[sgprSizeI]            // coord0 < size0
v_cmp_lt_u32 s[60:61], v1, s[sgprSizeJ]            // coord1 < size1
s_and_b64 s[60:61], s[56:57], s[60:61]             // in0 && in1
_v_add_lshl_u32 v156, v3, v0, 0x2                  // scaleToBpe: accumulate d0 lower and *= bpe into Cin addr
v_cndmask_b32 v156, -1, v156, s[60:61]             // LDD clip if OOB. offset
/* (d1,vc1,d0,vc0)=(9,0,1,0) */
_v_add_co_u32 v4, vcc, v0, 64                      // coord0.1: coord0 += d0*sg0*VW + vc0
v_cmp_lt_u32 s[56:57], v4, s[sgprSizeI]            // coord0 < size0
v_cmp_lt_u32 s[60:61], v1, s[sgprSizeJ]            // coord1 < size1
s_and_b64 s[60:61], s[56:57], s[60:61]             // in0 && in1
_v_add_lshl_u32 v158, v3, v4, 0x2                  // scaleToBpe: accumulate d0 lower and *= bpe into Cin addr
v_cndmask_b32 v158, -1, v158, s[60:61]             // LDD clip if OOB. offset
/* (d1,vc1,d0,vc0)=(9,1,0,0) */
_v_add_co_u32 v1, vcc, v1, 1                       // coord1.1: coord1Vgpr += d1*sg1*VW + vc1

/* Fix for UseInitialStridesCD, emitAddressSetupCode */
_v_add_u32 v2, v2, s[sgprStrideC1J]                // ROWINC- Move cinRowPtr to next row
_v_add_u32 v3, v3, s[sgprStrideD1J]                // Move coutRowPtr to next row
v_cmp_lt_u32 s[56:57], v0, s[sgprSizeI]            // coord0 < size0
v_cmp_lt_u32 s[60:61], v1, s[sgprSizeJ]            // coord1 < size1
s_and_b64 s[60:61], s[56:57], s[60:61]             // in0 && in1
_v_add_lshl_u32 v160, v3, v0, 0x2                  // scaleToBpe: accumulate d0 lower and *= bpe into Cin addr
v_cndmask_b32 v160, -1, v160, s[60:61]             // LDD clip if OOB. offset
/* (d1,vc1,d0,vc0)=(9,1,1,0) */
_v_add_co_u32 v4, vcc, v0, 64                      // coord0.1: coord0 += d0*sg0*VW + vc0
v_cmp_lt_u32 s[56:57], v4, s[sgprSizeI]            // coord0 < size0
v_cmp_lt_u32 s[60:61], v1, s[sgprSizeJ]            // coord1 < size1
s_and_b64 s[60:61], s[56:57], s[60:61]             // in0 && in1
_v_add_lshl_u32 v162, v3, v4, 0x2                  // scaleToBpe: accumulate d0 lower and *= bpe into Cin addr
v_cndmask_b32 v162, -1, v162, s[60:61]             // LDD clip if OOB. offset
/* (d1,vc1,d0,vc0)=(9,2,0,0) */
_v_add_co_u32 v1, vcc, v1, 1                       // coord1.1: coord1Vgpr += d1*sg1*VW + vc1

/* Fix for UseInitialStridesCD, emitAddressSetupCode */
_v_add_u32 v2, v2, s[sgprStrideC1J]                // ROWINC- Move cinRowPtr to next row
_v_add_u32 v3, v3, s[sgprStrideD1J]                // Move coutRowPtr to next row
	;; [unrolled: 18-line block ×3, first 2 shown]
v_cmp_lt_u32 s[56:57], v0, s[sgprSizeI]            // coord0 < size0
v_cmp_lt_u32 s[60:61], v1, s[sgprSizeJ]            // coord1 < size1
s_and_b64 s[60:61], s[56:57], s[60:61]             // in0 && in1
_v_add_lshl_u32 v168, v3, v0, 0x2                  // scaleToBpe: accumulate d0 lower and *= bpe into Cin addr
v_cndmask_b32 v168, -1, v168, s[60:61]             // LDD clip if OOB. offset
/* (d1,vc1,d0,vc0)=(9,3,1,0) */
_v_add_co_u32 v4, vcc, v0, 64                      // coord0.1: coord0 += d0*sg0*VW + vc0
v_cmp_lt_u32 s[56:57], v4, s[sgprSizeI]            // coord0 < size0
v_cmp_lt_u32 s[60:61], v1, s[sgprSizeJ]            // coord1 < size1
s_and_b64 s[60:61], s[56:57], s[60:61]             // in0 && in1
_v_add_lshl_u32 v170, v3, v4, 0x2                  // scaleToBpe: accumulate d0 lower and *= bpe into Cin addr
v_cndmask_b32 v170, -1, v170, s[60:61]             // LDD clip if OOB. offset
/* (d1,vc1,d0,vc0)=(10,0,0,0) */
_v_add_co_u32 v1, vcc, v1, 5                       // coord1.1: coord1Vgpr += d1*sg1*VW + vc1

/* Fix for UseInitialStridesCD, emitAddressSetupCode */
s_mul_i32 s56, s[sgprStrideC1J], 5                 // scale stride
_v_add_u32 v2, v2, s56                             // ROWINC- Move cinRowPtr to next row
s_mul_i32 s56, s[sgprStrideD1J], 5                 // scale stride
_v_add_u32 v3, v3, s56                             // Move coutRowPtr to next row
v_cmp_lt_u32 s[56:57], v0, s[sgprSizeI]            // coord0 < size0
v_cmp_lt_u32 s[60:61], v1, s[sgprSizeJ]            // coord1 < size1
s_and_b64 s[60:61], s[56:57], s[60:61]             // in0 && in1
_v_add_lshl_u32 v172, v3, v0, 0x2                  // scaleToBpe: accumulate d0 lower and *= bpe into Cin addr
v_cndmask_b32 v172, -1, v172, s[60:61]             // LDD clip if OOB. offset
/* (d1,vc1,d0,vc0)=(10,0,1,0) */
_v_add_co_u32 v4, vcc, v0, 64                      // coord0.1: coord0 += d0*sg0*VW + vc0
v_cmp_lt_u32 s[56:57], v4, s[sgprSizeI]            // coord0 < size0
v_cmp_lt_u32 s[60:61], v1, s[sgprSizeJ]            // coord1 < size1
s_and_b64 s[60:61], s[56:57], s[60:61]             // in0 && in1
_v_add_lshl_u32 v174, v3, v4, 0x2                  // scaleToBpe: accumulate d0 lower and *= bpe into Cin addr
v_cndmask_b32 v174, -1, v174, s[60:61]             // LDD clip if OOB. offset
/* (d1,vc1,d0,vc0)=(10,1,0,0) */
_v_add_co_u32 v1, vcc, v1, 1                       // coord1.1: coord1Vgpr += d1*sg1*VW + vc1

/* Fix for UseInitialStridesCD, emitAddressSetupCode */
_v_add_u32 v2, v2, s[sgprStrideC1J]                // ROWINC- Move cinRowPtr to next row
_v_add_u32 v3, v3, s[sgprStrideD1J]                // Move coutRowPtr to next row
v_cmp_lt_u32 s[56:57], v0, s[sgprSizeI]            // coord0 < size0
v_cmp_lt_u32 s[60:61], v1, s[sgprSizeJ]            // coord1 < size1
s_and_b64 s[60:61], s[56:57], s[60:61]             // in0 && in1
_v_add_lshl_u32 v176, v3, v0, 0x2                  // scaleToBpe: accumulate d0 lower and *= bpe into Cin addr
v_cndmask_b32 v176, -1, v176, s[60:61]             // LDD clip if OOB. offset
/* (d1,vc1,d0,vc0)=(10,1,1,0) */
_v_add_co_u32 v4, vcc, v0, 64                      // coord0.1: coord0 += d0*sg0*VW + vc0
v_cmp_lt_u32 s[56:57], v4, s[sgprSizeI]            // coord0 < size0
v_cmp_lt_u32 s[60:61], v1, s[sgprSizeJ]            // coord1 < size1
s_and_b64 s[60:61], s[56:57], s[60:61]             // in0 && in1
_v_add_lshl_u32 v178, v3, v4, 0x2                  // scaleToBpe: accumulate d0 lower and *= bpe into Cin addr
v_cndmask_b32 v178, -1, v178, s[60:61]             // LDD clip if OOB. offset
/* (d1,vc1,d0,vc0)=(10,2,0,0) */
_v_add_co_u32 v1, vcc, v1, 1                       // coord1.1: coord1Vgpr += d1*sg1*VW + vc1

/* Fix for UseInitialStridesCD, emitAddressSetupCode */
_v_add_u32 v2, v2, s[sgprStrideC1J]                // ROWINC- Move cinRowPtr to next row
_v_add_u32 v3, v3, s[sgprStrideD1J]                // Move coutRowPtr to next row
v_cmp_lt_u32 s[56:57], v0, s[sgprSizeI]            // coord0 < size0
v_cmp_lt_u32 s[60:61], v1, s[sgprSizeJ]            // coord1 < size1
s_and_b64 s[60:61], s[56:57], s[60:61]             // in0 && in1
_v_add_lshl_u32 v180, v3, v0, 0x2                  // scaleToBpe: accumulate d0 lower and *= bpe into Cin addr
v_cndmask_b32 v180, -1, v180, s[60:61]             // LDD clip if OOB. offset
/* (d1,vc1,d0,vc0)=(10,2,1,0) */
_v_add_co_u32 v4, vcc, v0, 64                      // coord0.1: coord0 += d0*sg0*VW + vc0
v_cmp_lt_u32 s[56:57], v4, s[sgprSizeI]            // coord0 < size0
v_cmp_lt_u32 s[60:61], v1, s[sgprSizeJ]            // coord1 < size1
s_and_b64 s[60:61], s[56:57], s[60:61]             // in0 && in1
_v_add_lshl_u32 v182, v3, v4, 0x2                  // scaleToBpe: accumulate d0 lower and *= bpe into Cin addr
v_cndmask_b32 v182, -1, v182, s[60:61]             // LDD clip if OOB. offset
/* (d1,vc1,d0,vc0)=(10,3,0,0) */
_v_add_co_u32 v1, vcc, v1, 1                       // coord1.1: coord1Vgpr += d1*sg1*VW + vc1

/* Fix for UseInitialStridesCD, emitAddressSetupCode */
_v_add_u32 v2, v2, s[sgprStrideC1J]                // ROWINC- Move cinRowPtr to next row
_v_add_u32 v3, v3, s[sgprStrideD1J]                // Move coutRowPtr to next row
v_cmp_lt_u32 s[56:57], v0, s[sgprSizeI]            // coord0 < size0
v_cmp_lt_u32 s[60:61], v1, s[sgprSizeJ]            // coord1 < size1
s_and_b64 s[60:61], s[56:57], s[60:61]             // in0 && in1
_v_add_lshl_u32 v184, v3, v0, 0x2                  // scaleToBpe: accumulate d0 lower and *= bpe into Cin addr
v_cndmask_b32 v184, -1, v184, s[60:61]             // LDD clip if OOB. offset
/* (d1,vc1,d0,vc0)=(10,3,1,0) */
_v_add_co_u32 v4, vcc, v0, 64                      // coord0.1: coord0 += d0*sg0*VW + vc0
v_cmp_lt_u32 s[56:57], v4, s[sgprSizeI]            // coord0 < size0
v_cmp_lt_u32 s[60:61], v1, s[sgprSizeJ]            // coord1 < size1
s_and_b64 s[60:61], s[56:57], s[60:61]             // in0 && in1
_v_add_lshl_u32 v186, v3, v4, 0x2                  // scaleToBpe: accumulate d0 lower and *= bpe into Cin addr
v_cndmask_b32 v186, -1, v186, s[60:61]             // LDD clip if OOB. offset
/* (d1,vc1,d0,vc0)=(11,0,0,0) */
_v_add_co_u32 v1, vcc, v1, 5                       // coord1.1: coord1Vgpr += d1*sg1*VW + vc1

/* Fix for UseInitialStridesCD, emitAddressSetupCode */
s_mul_i32 s56, s[sgprStrideC1J], 5                 // scale stride
_v_add_u32 v2, v2, s56                             // ROWINC- Move cinRowPtr to next row
s_mul_i32 s56, s[sgprStrideD1J], 5                 // scale stride
_v_add_u32 v3, v3, s56                             // Move coutRowPtr to next row
v_cmp_lt_u32 s[56:57], v0, s[sgprSizeI]            // coord0 < size0
v_cmp_lt_u32 s[60:61], v1, s[sgprSizeJ]            // coord1 < size1
s_and_b64 s[60:61], s[56:57], s[60:61]             // in0 && in1
_v_add_lshl_u32 v188, v3, v0, 0x2                  // scaleToBpe: accumulate d0 lower and *= bpe into Cin addr
v_cndmask_b32 v188, -1, v188, s[60:61]             // LDD clip if OOB. offset
/* (d1,vc1,d0,vc0)=(11,0,1,0) */
_v_add_co_u32 v4, vcc, v0, 64                      // coord0.1: coord0 += d0*sg0*VW + vc0
v_cmp_lt_u32 s[56:57], v4, s[sgprSizeI]            // coord0 < size0
v_cmp_lt_u32 s[60:61], v1, s[sgprSizeJ]            // coord1 < size1
s_and_b64 s[60:61], s[56:57], s[60:61]             // in0 && in1
_v_add_lshl_u32 v190, v3, v4, 0x2                  // scaleToBpe: accumulate d0 lower and *= bpe into Cin addr
v_cndmask_b32 v190, -1, v190, s[60:61]             // LDD clip if OOB. offset
/* (d1,vc1,d0,vc0)=(11,1,0,0) */
_v_add_co_u32 v1, vcc, v1, 1                       // coord1.1: coord1Vgpr += d1*sg1*VW + vc1

/* Fix for UseInitialStridesCD, emitAddressSetupCode */
_v_add_u32 v2, v2, s[sgprStrideC1J]                // ROWINC- Move cinRowPtr to next row
_v_add_u32 v3, v3, s[sgprStrideD1J]                // Move coutRowPtr to next row
v_cmp_lt_u32 s[56:57], v0, s[sgprSizeI]            // coord0 < size0
v_cmp_lt_u32 s[60:61], v1, s[sgprSizeJ]            // coord1 < size1
s_and_b64 s[60:61], s[56:57], s[60:61]             // in0 && in1
_v_add_lshl_u32 v192, v3, v0, 0x2                  // scaleToBpe: accumulate d0 lower and *= bpe into Cin addr
v_cndmask_b32 v192, -1, v192, s[60:61]             // LDD clip if OOB. offset
/* (d1,vc1,d0,vc0)=(11,1,1,0) */
_v_add_co_u32 v4, vcc, v0, 64                      // coord0.1: coord0 += d0*sg0*VW + vc0
v_cmp_lt_u32 s[56:57], v4, s[sgprSizeI]            // coord0 < size0
v_cmp_lt_u32 s[60:61], v1, s[sgprSizeJ]            // coord1 < size1
s_and_b64 s[60:61], s[56:57], s[60:61]             // in0 && in1
_v_add_lshl_u32 v194, v3, v4, 0x2                  // scaleToBpe: accumulate d0 lower and *= bpe into Cin addr
v_cndmask_b32 v194, -1, v194, s[60:61]             // LDD clip if OOB. offset
/* (d1,vc1,d0,vc0)=(11,2,0,0) */
_v_add_co_u32 v1, vcc, v1, 1                       // coord1.1: coord1Vgpr += d1*sg1*VW + vc1

/* Fix for UseInitialStridesCD, emitAddressSetupCode */
_v_add_u32 v2, v2, s[sgprStrideC1J]                // ROWINC- Move cinRowPtr to next row
_v_add_u32 v3, v3, s[sgprStrideD1J]                // Move coutRowPtr to next row
	;; [unrolled: 18-line block ×3, first 2 shown]
v_cmp_lt_u32 s[56:57], v0, s[sgprSizeI]            // coord0 < size0
v_cmp_lt_u32 s[60:61], v1, s[sgprSizeJ]            // coord1 < size1
s_and_b64 s[60:61], s[56:57], s[60:61]             // in0 && in1
_v_add_lshl_u32 v200, v3, v0, 0x2                  // scaleToBpe: accumulate d0 lower and *= bpe into Cin addr
v_cndmask_b32 v200, -1, v200, s[60:61]             // LDD clip if OOB. offset
/* (d1,vc1,d0,vc0)=(11,3,1,0) */
_v_add_co_u32 v4, vcc, v0, 64                      // coord0.1: coord0 += d0*sg0*VW + vc0
v_cmp_lt_u32 s[56:57], v4, s[sgprSizeI]            // coord0 < size0
v_cmp_lt_u32 s[60:61], v1, s[sgprSizeJ]            // coord1 < size1
s_and_b64 s[60:61], s[56:57], s[60:61]             // in0 && in1
_v_add_lshl_u32 v202, v3, v4, 0x2                  // scaleToBpe: accumulate d0 lower and *= bpe into Cin addr
v_cndmask_b32 v202, -1, v202, s[60:61]             // LDD clip if OOB. offset
v_accvgpr_read_b32 v[vgprValuC+7], acc0 // copy acc to vreg[0]
v_accvgpr_read_b32 v[vgprValuC+9], acc16 // copy acc to vreg[1]
v_accvgpr_read_b32 v[vgprValuC+11], acc1 // copy acc to vreg[2]
v_accvgpr_read_b32 v[vgprValuC+13], acc17 // copy acc to vreg[3]
v_accvgpr_read_b32 v[vgprValuC+15], acc2 // copy acc to vreg[4]
v_accvgpr_read_b32 v[vgprValuC+17], acc18 // copy acc to vreg[5]
v_accvgpr_read_b32 v[vgprValuC+19], acc3 // copy acc to vreg[6]
v_accvgpr_read_b32 v[vgprValuC+21], acc19 // copy acc to vreg[7]
v_accvgpr_read_b32 v[vgprValuC+23], acc4 // copy acc to vreg[8]
v_accvgpr_read_b32 v[vgprValuC+25], acc20 // copy acc to vreg[9]
v_accvgpr_read_b32 v[vgprValuC+27], acc5 // copy acc to vreg[10]
v_accvgpr_read_b32 v[vgprValuC+29], acc21 // copy acc to vreg[11]
v_accvgpr_read_b32 v[vgprValuC+31], acc6 // copy acc to vreg[12]
v_accvgpr_read_b32 v[vgprValuC+33], acc22 // copy acc to vreg[13]
v_accvgpr_read_b32 v[vgprValuC+35], acc7 // copy acc to vreg[14]
v_accvgpr_read_b32 v[vgprValuC+37], acc23 // copy acc to vreg[15]
v_accvgpr_read_b32 v[vgprValuC+39], acc8 // copy acc to vreg[16]
v_accvgpr_read_b32 v[vgprValuC+41], acc24 // copy acc to vreg[17]
v_accvgpr_read_b32 v[vgprValuC+43], acc9 // copy acc to vreg[18]
v_accvgpr_read_b32 v[vgprValuC+45], acc25 // copy acc to vreg[19]
v_accvgpr_read_b32 v[vgprValuC+47], acc10 // copy acc to vreg[20]
v_accvgpr_read_b32 v[vgprValuC+49], acc26 // copy acc to vreg[21]
v_accvgpr_read_b32 v[vgprValuC+51], acc11 // copy acc to vreg[22]
v_accvgpr_read_b32 v[vgprValuC+53], acc27 // copy acc to vreg[23]
v_accvgpr_read_b32 v[vgprValuC+55], acc12 // copy acc to vreg[24]
v_accvgpr_read_b32 v[vgprValuC+57], acc28 // copy acc to vreg[25]
v_accvgpr_read_b32 v[vgprValuC+59], acc13 // copy acc to vreg[26]
v_accvgpr_read_b32 v[vgprValuC+61], acc29 // copy acc to vreg[27]
v_accvgpr_read_b32 v[vgprValuC+63], acc14 // copy acc to vreg[28]
v_accvgpr_read_b32 v[vgprValuC+65], acc30 // copy acc to vreg[29]
v_accvgpr_read_b32 v[vgprValuC+67], acc15 // copy acc to vreg[30]
v_accvgpr_read_b32 v[vgprValuC+69], acc31 // copy acc to vreg[31]
v_accvgpr_read_b32 v[vgprValuC+71], acc32 // copy acc to vreg[32]
v_accvgpr_read_b32 v[vgprValuC+79], acc48 // copy acc to vreg[33]
v_accvgpr_read_b32 v[vgprValuC+81], acc33 // copy acc to vreg[34]
v_accvgpr_read_b32 v[vgprValuC+83], acc49 // copy acc to vreg[35]
v_accvgpr_read_b32 v[vgprValuC+85], acc34 // copy acc to vreg[36]
v_accvgpr_read_b32 v[vgprValuC+87], acc50 // copy acc to vreg[37]
v_accvgpr_read_b32 v[vgprValuC+89], acc35 // copy acc to vreg[38]
v_accvgpr_read_b32 v[vgprValuC+91], acc51 // copy acc to vreg[39]
v_accvgpr_read_b32 v[vgprValuC+93], acc36 // copy acc to vreg[40]
v_accvgpr_read_b32 v[vgprValuC+95], acc52 // copy acc to vreg[41]
v_accvgpr_read_b32 v[vgprValuC+97], acc37 // copy acc to vreg[42]
v_accvgpr_read_b32 v[vgprValuC+99], acc53 // copy acc to vreg[43]
v_accvgpr_read_b32 v[vgprValuC+101], acc38 // copy acc to vreg[44]
v_accvgpr_read_b32 v[vgprValuC+103], acc54 // copy acc to vreg[45]
v_accvgpr_read_b32 v[vgprValuC+105], acc39 // copy acc to vreg[46]
v_accvgpr_read_b32 v[vgprValuC+107], acc55 // copy acc to vreg[47]
v_accvgpr_read_b32 v[vgprValuC+109], acc40 // copy acc to vreg[48]
v_accvgpr_read_b32 v[vgprValuC+111], acc56 // copy acc to vreg[49]
v_accvgpr_read_b32 v[vgprValuC+113], acc41 // copy acc to vreg[50]
v_accvgpr_read_b32 v[vgprValuC+115], acc57 // copy acc to vreg[51]
v_accvgpr_read_b32 v[vgprValuC+117], acc42 // copy acc to vreg[52]
v_accvgpr_read_b32 v[vgprValuC+119], acc58 // copy acc to vreg[53]
v_accvgpr_read_b32 v[vgprValuC+121], acc43 // copy acc to vreg[54]
v_accvgpr_read_b32 v[vgprValuC+123], acc59 // copy acc to vreg[55]
v_accvgpr_read_b32 v[vgprValuC+125], acc44 // copy acc to vreg[56]
v_accvgpr_read_b32 v[vgprValuC+127], acc60 // copy acc to vreg[57]
v_accvgpr_read_b32 v[vgprValuC+129], acc45 // copy acc to vreg[58]
v_accvgpr_read_b32 v[vgprValuC+131], acc61 // copy acc to vreg[59]
v_accvgpr_read_b32 v[vgprValuC+133], acc46 // copy acc to vreg[60]
v_accvgpr_read_b32 v[vgprValuC+135], acc62 // copy acc to vreg[61]
v_accvgpr_read_b32 v[vgprValuC+137], acc47 // copy acc to vreg[62]
v_accvgpr_read_b32 v[vgprValuC+139], acc63 // copy acc to vreg[63]
v_accvgpr_read_b32 v[vgprValuC+141], acc64 // copy acc to vreg[64]
v_accvgpr_read_b32 v[vgprValuC+143], acc80 // copy acc to vreg[65]
v_accvgpr_read_b32 v[vgprValuC+145], acc65 // copy acc to vreg[66]
v_accvgpr_read_b32 v[vgprValuC+147], acc81 // copy acc to vreg[67]
v_accvgpr_read_b32 v[vgprValuC+149], acc66 // copy acc to vreg[68]
v_accvgpr_read_b32 v[vgprValuC+151], acc82 // copy acc to vreg[69]
v_accvgpr_read_b32 v[vgprValuC+153], acc67 // copy acc to vreg[70]
v_accvgpr_read_b32 v[vgprValuC+155], acc83 // copy acc to vreg[71]
v_accvgpr_read_b32 v[vgprValuC+157], acc68 // copy acc to vreg[72]
v_accvgpr_read_b32 v[vgprValuC+159], acc84 // copy acc to vreg[73]
v_accvgpr_read_b32 v[vgprValuC+161], acc69 // copy acc to vreg[74]
v_accvgpr_read_b32 v[vgprValuC+163], acc85 // copy acc to vreg[75]
v_accvgpr_read_b32 v[vgprValuC+165], acc70 // copy acc to vreg[76]
v_accvgpr_read_b32 v[vgprValuC+167], acc86 // copy acc to vreg[77]
v_accvgpr_read_b32 v[vgprValuC+169], acc71 // copy acc to vreg[78]
v_accvgpr_read_b32 v[vgprValuC+171], acc87 // copy acc to vreg[79]
v_accvgpr_read_b32 v[vgprValuC+173], acc72 // copy acc to vreg[80]
v_accvgpr_read_b32 v[vgprValuC+175], acc88 // copy acc to vreg[81]
v_accvgpr_read_b32 v[vgprValuC+177], acc73 // copy acc to vreg[82]
v_accvgpr_read_b32 v[vgprValuC+179], acc89 // copy acc to vreg[83]
v_accvgpr_read_b32 v[vgprValuC+181], acc74 // copy acc to vreg[84]
v_accvgpr_read_b32 v[vgprValuC+183], acc90 // copy acc to vreg[85]
v_accvgpr_read_b32 v[vgprValuC+185], acc75 // copy acc to vreg[86]
v_accvgpr_read_b32 v[vgprValuC+187], acc91 // copy acc to vreg[87]
v_accvgpr_read_b32 v[vgprValuC+189], acc76 // copy acc to vreg[88]
v_accvgpr_read_b32 v[vgprValuC+191], acc92 // copy acc to vreg[89]
v_accvgpr_read_b32 v[vgprValuC+193], acc77 // copy acc to vreg[90]
v_accvgpr_read_b32 v[vgprValuC+195], acc93 // copy acc to vreg[91]
v_accvgpr_read_b32 v[vgprValuC+197], acc78 // copy acc to vreg[92]
v_accvgpr_read_b32 v[vgprValuC+199], acc94 // copy acc to vreg[93]
v_accvgpr_read_b32 v[vgprValuC+201], acc79 // copy acc to vreg[94]
v_accvgpr_read_b32 v[vgprValuC+203], acc95 // copy acc to vreg[95]
s_nop 1                                            // 2 wait states required before reading vgpr

/* rC *= alpha batchElements=[(0, 0, 0, 0), (0, 1, 0, 0), (0, 0, 1, 0), (0, 1, 1, 0), (0, 0, 2, 0), (0, 1, 2, 0), (0, 0, 3, 0), (0, 1, 3, 0), (1, 0, 0, 0), (1, 1, 0, 0), (1, 0, 1, 0), (1, 1, 1, 0), (1, 0, 2, 0), (1, 1, 2, 0), (1, 0, 3, 0), (1, 1, 3, 0), (2, 0, 0, 0), (2, 1, 0, 0), (2, 0, 1, 0), (2, 1, 1, 0), (2, 0, 2, 0), (2, 1, 2, 0), (2, 0, 3, 0), (2, 1, 3, 0), (3, 0, 0, 0), (3, 1, 0, 0), (3, 0, 1, 0), (3, 1, 1, 0), (3, 0, 2, 0), (3, 1, 2, 0), (3, 0, 3, 0), (3, 1, 3, 0), (4, 0, 0, 0), (4, 1, 0, 0), (4, 0, 1, 0), (4, 1, 1, 0), (4, 0, 2, 0), (4, 1, 2, 0), (4, 0, 3, 0), (4, 1, 3, 0), (5, 0, 0, 0), (5, 1, 0, 0), (5, 0, 1, 0), (5, 1, 1, 0), (5, 0, 2, 0), (5, 1, 2, 0), (5, 0, 3, 0), (5, 1, 3, 0), (6, 0, 0, 0), (6, 1, 0, 0), (6, 0, 1, 0), (6, 1, 1, 0), (6, 0, 2, 0), (6, 1, 2, 0), (6, 0, 3, 0), (6, 1, 3, 0), (7, 0, 0, 0), (7, 1, 0, 0), (7, 0, 1, 0), (7, 1, 1, 0), (7, 0, 2, 0), (7, 1, 2, 0), (7, 0, 3, 0), (7, 1, 3, 0), (8, 0, 0, 0), (8, 1, 0, 0), (8, 0, 1, 0), (8, 1, 1, 0), (8, 0, 2, 0), (8, 1, 2, 0), (8, 0, 3, 0), (8, 1, 3, 0), (9, 0, 0, 0), (9, 1, 0, 0), (9, 0, 1, 0), (9, 1, 1, 0), (9, 0, 2, 0), (9, 1, 2, 0), (9, 0, 3, 0), (9, 1, 3, 0), (10, 0, 0, 0), (10, 1, 0, 0), (10, 0, 1, 0), (10, 1, 1, 0), (10, 0, 2, 0), (10, 1, 2, 0), (10, 0, 3, 0), (10, 1, 3, 0), (11, 0, 0, 0), (11, 1, 0, 0), (11, 0, 1, 0), (11, 1, 1, 0), (11, 0, 2, 0), (11, 1, 2, 0), (11, 0, 3, 0), (11, 1, 3, 0)] */

/* apply mask, calc new C and issue writes */
_buffer_store_b32 v7, v6, s[sgprSrdD:sgprSrdD+3], 0, offen, offset:0 // store D
_buffer_store_b32 v9, v8, s[sgprSrdD:sgprSrdD+3], 0, offen, offset:0 // store D
	;; [unrolled: 1-line block ×96, first 2 shown]
s_nop 0                                            // 1 wait state required when next inst writes vgprs held by previous dwordx4 store inst
s_branch label_GW_End_146                          // jump to end
label_GW_End_146:

label_0151:  /// KernelEnd
s_endpgm                                           // Kernel End

